;; amdgpu-corpus repo=ROCm/rocFFT kind=compiled arch=gfx1201 opt=O3
	.text
	.amdgcn_target "amdgcn-amd-amdhsa--gfx1201"
	.amdhsa_code_object_version 6
	.protected	fft_rtc_fwd_len3200_factors_10_10_4_4_2_wgs_160_tpt_160_halfLds_sp_ip_CI_unitstride_sbrr_R2C_dirReg ; -- Begin function fft_rtc_fwd_len3200_factors_10_10_4_4_2_wgs_160_tpt_160_halfLds_sp_ip_CI_unitstride_sbrr_R2C_dirReg
	.globl	fft_rtc_fwd_len3200_factors_10_10_4_4_2_wgs_160_tpt_160_halfLds_sp_ip_CI_unitstride_sbrr_R2C_dirReg
	.p2align	8
	.type	fft_rtc_fwd_len3200_factors_10_10_4_4_2_wgs_160_tpt_160_halfLds_sp_ip_CI_unitstride_sbrr_R2C_dirReg,@function
fft_rtc_fwd_len3200_factors_10_10_4_4_2_wgs_160_tpt_160_halfLds_sp_ip_CI_unitstride_sbrr_R2C_dirReg: ; @fft_rtc_fwd_len3200_factors_10_10_4_4_2_wgs_160_tpt_160_halfLds_sp_ip_CI_unitstride_sbrr_R2C_dirReg
; %bb.0:
	s_clause 0x2
	s_load_b128 s[4:7], s[0:1], 0x0
	s_load_b64 s[8:9], s[0:1], 0x50
	s_load_b64 s[10:11], s[0:1], 0x18
	v_mul_u32_u24_e32 v1, 0x19a, v0
	v_mov_b32_e32 v3, 0
	s_delay_alu instid0(VALU_DEP_2) | instskip(NEXT) | instid1(VALU_DEP_1)
	v_lshrrev_b32_e32 v1, 16, v1
	v_add_nc_u32_e32 v5, ttmp9, v1
	v_mov_b32_e32 v1, 0
	v_mov_b32_e32 v2, 0
	;; [unrolled: 1-line block ×3, first 2 shown]
	s_wait_kmcnt 0x0
	v_cmp_lt_u64_e64 s2, s[6:7], 2
	s_delay_alu instid0(VALU_DEP_1)
	s_and_b32 vcc_lo, exec_lo, s2
	s_cbranch_vccnz .LBB0_8
; %bb.1:
	s_load_b64 s[2:3], s[0:1], 0x10
	v_mov_b32_e32 v1, 0
	v_mov_b32_e32 v2, 0
	s_add_nc_u64 s[12:13], s[10:11], 8
	s_mov_b64 s[14:15], 1
	s_wait_kmcnt 0x0
	s_add_nc_u64 s[16:17], s[2:3], 8
	s_mov_b32 s3, 0
.LBB0_2:                                ; =>This Inner Loop Header: Depth=1
	s_load_b64 s[18:19], s[16:17], 0x0
                                        ; implicit-def: $vgpr7_vgpr8
	s_mov_b32 s2, exec_lo
	s_wait_kmcnt 0x0
	v_or_b32_e32 v4, s19, v6
	s_delay_alu instid0(VALU_DEP_1)
	v_cmpx_ne_u64_e32 0, v[3:4]
	s_wait_alu 0xfffe
	s_xor_b32 s20, exec_lo, s2
	s_cbranch_execz .LBB0_4
; %bb.3:                                ;   in Loop: Header=BB0_2 Depth=1
	s_cvt_f32_u32 s2, s18
	s_cvt_f32_u32 s21, s19
	s_sub_nc_u64 s[24:25], 0, s[18:19]
	s_wait_alu 0xfffe
	s_delay_alu instid0(SALU_CYCLE_1) | instskip(SKIP_1) | instid1(SALU_CYCLE_2)
	s_fmamk_f32 s2, s21, 0x4f800000, s2
	s_wait_alu 0xfffe
	v_s_rcp_f32 s2, s2
	s_delay_alu instid0(TRANS32_DEP_1) | instskip(SKIP_1) | instid1(SALU_CYCLE_2)
	s_mul_f32 s2, s2, 0x5f7ffffc
	s_wait_alu 0xfffe
	s_mul_f32 s21, s2, 0x2f800000
	s_wait_alu 0xfffe
	s_delay_alu instid0(SALU_CYCLE_2) | instskip(SKIP_1) | instid1(SALU_CYCLE_2)
	s_trunc_f32 s21, s21
	s_wait_alu 0xfffe
	s_fmamk_f32 s2, s21, 0xcf800000, s2
	s_cvt_u32_f32 s23, s21
	s_wait_alu 0xfffe
	s_delay_alu instid0(SALU_CYCLE_1) | instskip(SKIP_1) | instid1(SALU_CYCLE_2)
	s_cvt_u32_f32 s22, s2
	s_wait_alu 0xfffe
	s_mul_u64 s[26:27], s[24:25], s[22:23]
	s_wait_alu 0xfffe
	s_mul_hi_u32 s29, s22, s27
	s_mul_i32 s28, s22, s27
	s_mul_hi_u32 s2, s22, s26
	s_mul_i32 s30, s23, s26
	s_wait_alu 0xfffe
	s_add_nc_u64 s[28:29], s[2:3], s[28:29]
	s_mul_hi_u32 s21, s23, s26
	s_mul_hi_u32 s31, s23, s27
	s_add_co_u32 s2, s28, s30
	s_wait_alu 0xfffe
	s_add_co_ci_u32 s2, s29, s21
	s_mul_i32 s26, s23, s27
	s_add_co_ci_u32 s27, s31, 0
	s_wait_alu 0xfffe
	s_add_nc_u64 s[26:27], s[2:3], s[26:27]
	s_wait_alu 0xfffe
	v_add_co_u32 v4, s2, s22, s26
	s_delay_alu instid0(VALU_DEP_1) | instskip(SKIP_1) | instid1(VALU_DEP_1)
	s_cmp_lg_u32 s2, 0
	s_add_co_ci_u32 s23, s23, s27
	v_readfirstlane_b32 s22, v4
	s_wait_alu 0xfffe
	s_delay_alu instid0(VALU_DEP_1)
	s_mul_u64 s[24:25], s[24:25], s[22:23]
	s_wait_alu 0xfffe
	s_mul_hi_u32 s27, s22, s25
	s_mul_i32 s26, s22, s25
	s_mul_hi_u32 s2, s22, s24
	s_mul_i32 s28, s23, s24
	s_wait_alu 0xfffe
	s_add_nc_u64 s[26:27], s[2:3], s[26:27]
	s_mul_hi_u32 s21, s23, s24
	s_mul_hi_u32 s22, s23, s25
	s_wait_alu 0xfffe
	s_add_co_u32 s2, s26, s28
	s_add_co_ci_u32 s2, s27, s21
	s_mul_i32 s24, s23, s25
	s_add_co_ci_u32 s25, s22, 0
	s_wait_alu 0xfffe
	s_add_nc_u64 s[24:25], s[2:3], s[24:25]
	s_wait_alu 0xfffe
	v_add_co_u32 v4, s2, v4, s24
	s_delay_alu instid0(VALU_DEP_1) | instskip(SKIP_1) | instid1(VALU_DEP_1)
	s_cmp_lg_u32 s2, 0
	s_add_co_ci_u32 s2, s23, s25
	v_mul_hi_u32 v13, v5, v4
	s_wait_alu 0xfffe
	v_mad_co_u64_u32 v[7:8], null, v5, s2, 0
	v_mad_co_u64_u32 v[9:10], null, v6, v4, 0
	;; [unrolled: 1-line block ×3, first 2 shown]
	s_delay_alu instid0(VALU_DEP_3) | instskip(SKIP_1) | instid1(VALU_DEP_4)
	v_add_co_u32 v4, vcc_lo, v13, v7
	s_wait_alu 0xfffd
	v_add_co_ci_u32_e32 v7, vcc_lo, 0, v8, vcc_lo
	s_delay_alu instid0(VALU_DEP_2) | instskip(SKIP_1) | instid1(VALU_DEP_2)
	v_add_co_u32 v4, vcc_lo, v4, v9
	s_wait_alu 0xfffd
	v_add_co_ci_u32_e32 v4, vcc_lo, v7, v10, vcc_lo
	s_wait_alu 0xfffd
	v_add_co_ci_u32_e32 v7, vcc_lo, 0, v12, vcc_lo
	s_delay_alu instid0(VALU_DEP_2) | instskip(SKIP_1) | instid1(VALU_DEP_2)
	v_add_co_u32 v4, vcc_lo, v4, v11
	s_wait_alu 0xfffd
	v_add_co_ci_u32_e32 v9, vcc_lo, 0, v7, vcc_lo
	s_delay_alu instid0(VALU_DEP_2) | instskip(SKIP_1) | instid1(VALU_DEP_3)
	v_mul_lo_u32 v10, s19, v4
	v_mad_co_u64_u32 v[7:8], null, s18, v4, 0
	v_mul_lo_u32 v11, s18, v9
	s_delay_alu instid0(VALU_DEP_2) | instskip(NEXT) | instid1(VALU_DEP_2)
	v_sub_co_u32 v7, vcc_lo, v5, v7
	v_add3_u32 v8, v8, v11, v10
	s_delay_alu instid0(VALU_DEP_1) | instskip(SKIP_1) | instid1(VALU_DEP_1)
	v_sub_nc_u32_e32 v10, v6, v8
	s_wait_alu 0xfffd
	v_subrev_co_ci_u32_e64 v10, s2, s19, v10, vcc_lo
	v_add_co_u32 v11, s2, v4, 2
	s_wait_alu 0xf1ff
	v_add_co_ci_u32_e64 v12, s2, 0, v9, s2
	v_sub_co_u32 v13, s2, v7, s18
	v_sub_co_ci_u32_e32 v8, vcc_lo, v6, v8, vcc_lo
	s_wait_alu 0xf1ff
	v_subrev_co_ci_u32_e64 v10, s2, 0, v10, s2
	s_delay_alu instid0(VALU_DEP_3) | instskip(NEXT) | instid1(VALU_DEP_3)
	v_cmp_le_u32_e32 vcc_lo, s18, v13
	v_cmp_eq_u32_e64 s2, s19, v8
	s_wait_alu 0xfffd
	v_cndmask_b32_e64 v13, 0, -1, vcc_lo
	v_cmp_le_u32_e32 vcc_lo, s19, v10
	s_wait_alu 0xfffd
	v_cndmask_b32_e64 v14, 0, -1, vcc_lo
	v_cmp_le_u32_e32 vcc_lo, s18, v7
	;; [unrolled: 3-line block ×3, first 2 shown]
	s_wait_alu 0xfffd
	v_cndmask_b32_e64 v15, 0, -1, vcc_lo
	v_cmp_eq_u32_e32 vcc_lo, s19, v10
	s_wait_alu 0xf1ff
	s_delay_alu instid0(VALU_DEP_2)
	v_cndmask_b32_e64 v7, v15, v7, s2
	s_wait_alu 0xfffd
	v_cndmask_b32_e32 v10, v14, v13, vcc_lo
	v_add_co_u32 v13, vcc_lo, v4, 1
	s_wait_alu 0xfffd
	v_add_co_ci_u32_e32 v14, vcc_lo, 0, v9, vcc_lo
	s_delay_alu instid0(VALU_DEP_3) | instskip(SKIP_2) | instid1(VALU_DEP_3)
	v_cmp_ne_u32_e32 vcc_lo, 0, v10
	s_wait_alu 0xfffd
	v_cndmask_b32_e32 v10, v13, v11, vcc_lo
	v_cndmask_b32_e32 v8, v14, v12, vcc_lo
	v_cmp_ne_u32_e32 vcc_lo, 0, v7
	s_wait_alu 0xfffd
	s_delay_alu instid0(VALU_DEP_2)
	v_dual_cndmask_b32 v7, v4, v10 :: v_dual_cndmask_b32 v8, v9, v8
.LBB0_4:                                ;   in Loop: Header=BB0_2 Depth=1
	s_wait_alu 0xfffe
	s_and_not1_saveexec_b32 s2, s20
	s_cbranch_execz .LBB0_6
; %bb.5:                                ;   in Loop: Header=BB0_2 Depth=1
	v_cvt_f32_u32_e32 v4, s18
	s_sub_co_i32 s20, 0, s18
	s_delay_alu instid0(VALU_DEP_1) | instskip(NEXT) | instid1(TRANS32_DEP_1)
	v_rcp_iflag_f32_e32 v4, v4
	v_mul_f32_e32 v4, 0x4f7ffffe, v4
	s_delay_alu instid0(VALU_DEP_1) | instskip(SKIP_1) | instid1(VALU_DEP_1)
	v_cvt_u32_f32_e32 v4, v4
	s_wait_alu 0xfffe
	v_mul_lo_u32 v7, s20, v4
	s_delay_alu instid0(VALU_DEP_1) | instskip(NEXT) | instid1(VALU_DEP_1)
	v_mul_hi_u32 v7, v4, v7
	v_add_nc_u32_e32 v4, v4, v7
	s_delay_alu instid0(VALU_DEP_1) | instskip(NEXT) | instid1(VALU_DEP_1)
	v_mul_hi_u32 v4, v5, v4
	v_mul_lo_u32 v7, v4, s18
	v_add_nc_u32_e32 v8, 1, v4
	s_delay_alu instid0(VALU_DEP_2) | instskip(NEXT) | instid1(VALU_DEP_1)
	v_sub_nc_u32_e32 v7, v5, v7
	v_subrev_nc_u32_e32 v9, s18, v7
	v_cmp_le_u32_e32 vcc_lo, s18, v7
	s_wait_alu 0xfffd
	s_delay_alu instid0(VALU_DEP_2) | instskip(NEXT) | instid1(VALU_DEP_1)
	v_dual_cndmask_b32 v7, v7, v9 :: v_dual_cndmask_b32 v4, v4, v8
	v_cmp_le_u32_e32 vcc_lo, s18, v7
	s_delay_alu instid0(VALU_DEP_2) | instskip(SKIP_1) | instid1(VALU_DEP_1)
	v_add_nc_u32_e32 v8, 1, v4
	s_wait_alu 0xfffd
	v_dual_cndmask_b32 v7, v4, v8 :: v_dual_mov_b32 v8, v3
.LBB0_6:                                ;   in Loop: Header=BB0_2 Depth=1
	s_wait_alu 0xfffe
	s_or_b32 exec_lo, exec_lo, s2
	s_load_b64 s[20:21], s[12:13], 0x0
	s_delay_alu instid0(VALU_DEP_1)
	v_mul_lo_u32 v4, v8, s18
	v_mul_lo_u32 v11, v7, s19
	v_mad_co_u64_u32 v[9:10], null, v7, s18, 0
	s_add_nc_u64 s[14:15], s[14:15], 1
	s_add_nc_u64 s[12:13], s[12:13], 8
	s_wait_alu 0xfffe
	v_cmp_ge_u64_e64 s2, s[14:15], s[6:7]
	s_add_nc_u64 s[16:17], s[16:17], 8
	s_delay_alu instid0(VALU_DEP_2) | instskip(NEXT) | instid1(VALU_DEP_3)
	v_add3_u32 v4, v10, v11, v4
	v_sub_co_u32 v5, vcc_lo, v5, v9
	s_wait_alu 0xfffd
	s_delay_alu instid0(VALU_DEP_2) | instskip(SKIP_3) | instid1(VALU_DEP_2)
	v_sub_co_ci_u32_e32 v4, vcc_lo, v6, v4, vcc_lo
	s_and_b32 vcc_lo, exec_lo, s2
	s_wait_kmcnt 0x0
	v_mul_lo_u32 v6, s21, v5
	v_mul_lo_u32 v4, s20, v4
	v_mad_co_u64_u32 v[1:2], null, s20, v5, v[1:2]
	s_delay_alu instid0(VALU_DEP_1)
	v_add3_u32 v2, v6, v2, v4
	s_wait_alu 0xfffe
	s_cbranch_vccnz .LBB0_9
; %bb.7:                                ;   in Loop: Header=BB0_2 Depth=1
	v_dual_mov_b32 v5, v7 :: v_dual_mov_b32 v6, v8
	s_branch .LBB0_2
.LBB0_8:
	v_dual_mov_b32 v8, v6 :: v_dual_mov_b32 v7, v5
.LBB0_9:
	s_lshl_b64 s[2:3], s[6:7], 3
	v_mul_hi_u32 v3, 0x199999a, v0
	s_wait_alu 0xfffe
	s_add_nc_u64 s[2:3], s[10:11], s[2:3]
	s_load_b64 s[0:1], s[0:1], 0x20
	s_load_b64 s[2:3], s[2:3], 0x0
	s_delay_alu instid0(VALU_DEP_1) | instskip(NEXT) | instid1(VALU_DEP_1)
	v_mul_u32_u24_e32 v3, 0xa0, v3
	v_sub_nc_u32_e32 v16, v0, v3
	s_delay_alu instid0(VALU_DEP_1)
	v_add_nc_u32_e32 v20, 0xa0, v16
	v_add_nc_u32_e32 v34, 0x140, v16
	;; [unrolled: 1-line block ×4, first 2 shown]
	s_wait_kmcnt 0x0
	v_cmp_gt_u64_e32 vcc_lo, s[0:1], v[7:8]
	v_mul_lo_u32 v3, s2, v8
	v_mul_lo_u32 v4, s3, v7
	v_mad_co_u64_u32 v[0:1], null, s2, v7, v[1:2]
	v_cmp_le_u64_e64 s0, s[0:1], v[7:8]
	v_or_b32_e32 v26, 0x500, v16
	v_add_nc_u32_e32 v30, 0x320, v16
	v_add_nc_u32_e32 v36, 0x1e0, v16
	;; [unrolled: 1-line block ×4, first 2 shown]
	v_add3_u32 v1, v4, v1, v3
	s_and_saveexec_b32 s1, s0
	s_wait_alu 0xfffe
	s_xor_b32 s0, exec_lo, s1
	s_cbranch_execz .LBB0_11
; %bb.10:
	v_dual_mov_b32 v17, 0 :: v_dual_add_nc_u32 v20, 0xa0, v16
	v_add_nc_u32_e32 v34, 0x140, v16
	v_add_nc_u32_e32 v32, 0x280, v16
	;; [unrolled: 1-line block ×3, first 2 shown]
	v_or_b32_e32 v26, 0x500, v16
	v_dual_mov_b32 v37, v17 :: v_dual_add_nc_u32 v30, 0x320, v16
	v_dual_mov_b32 v33, v17 :: v_dual_add_nc_u32 v36, 0x1e0, v16
	;; [unrolled: 1-line block ×4, first 2 shown]
	v_mov_b32_e32 v23, v17
	v_mov_b32_e32 v21, v17
	;; [unrolled: 1-line block ×5, first 2 shown]
.LBB0_11:
	s_wait_alu 0xfffe
	s_or_saveexec_b32 s1, s0
	v_lshlrev_b64_e32 v[18:19], 3, v[0:1]
	s_wait_alu 0xfffe
	s_xor_b32 exec_lo, exec_lo, s1
	s_cbranch_execz .LBB0_13
; %bb.12:
	v_lshl_add_u32 v62, v16, 3, 0
	v_mov_b32_e32 v17, 0
	v_add_co_u32 v2, s0, s8, v18
	s_wait_alu 0xf1ff
	v_add_co_ci_u32_e64 v3, s0, s9, v19, s0
	v_add_nc_u32_e32 v64, 0x1400, v62
	v_lshlrev_b64_e32 v[0:1], 3, v[16:17]
	v_dual_mov_b32 v21, v17 :: v_dual_add_nc_u32 v66, 0x2800, v62
	v_dual_mov_b32 v35, v17 :: v_dual_add_nc_u32 v68, 0x3c00, v62
	;; [unrolled: 1-line block ×3, first 2 shown]
	s_delay_alu instid0(VALU_DEP_4)
	v_add_co_u32 v0, s0, v2, v0
	s_wait_alu 0xf1ff
	v_add_co_ci_u32_e64 v1, s0, v3, v1, s0
	s_clause 0x13
	global_load_b64 v[2:3], v[0:1], off
	global_load_b64 v[4:5], v[0:1], off offset:1280
	global_load_b64 v[6:7], v[0:1], off offset:2560
	;; [unrolled: 1-line block ×19, first 2 shown]
	v_mov_b32_e32 v33, v17
	v_mov_b32_e32 v31, v17
	;; [unrolled: 1-line block ×6, first 2 shown]
	v_add_nc_u32_e32 v63, 0x800, v62
	v_add_nc_u32_e32 v65, 0x1c00, v62
	;; [unrolled: 1-line block ×5, first 2 shown]
	s_wait_loadcnt 0x12
	ds_store_2addr_b64 v62, v[2:3], v[4:5] offset1:160
	s_wait_loadcnt 0x10
	ds_store_2addr_b64 v63, v[6:7], v[8:9] offset0:64 offset1:224
	s_wait_loadcnt 0xe
	ds_store_2addr_b64 v64, v[10:11], v[12:13] offset1:160
	s_wait_loadcnt 0xc
	ds_store_2addr_b64 v65, v[14:15], v[38:39] offset0:64 offset1:224
	;; [unrolled: 4-line block ×5, first 2 shown]
.LBB0_13:
	s_or_b32 exec_lo, exec_lo, s1
	v_lshlrev_b32_e32 v41, 3, v16
	global_wb scope:SCOPE_SE
	s_wait_dscnt 0x0
	s_barrier_signal -1
	s_barrier_wait -1
	global_inv scope:SCOPE_SE
	v_add_nc_u32_e32 v40, 0, v41
	v_cmp_gt_u32_e64 s0, 0x64, v16
	s_delay_alu instid0(VALU_DEP_2)
	v_add_nc_u32_e32 v4, 0x1400, v40
	v_add_nc_u32_e32 v5, 0x2800, v40
	;; [unrolled: 1-line block ×4, first 2 shown]
	ds_load_2addr_b64 v[0:3], v40 offset1:160
	ds_load_2addr_b64 v[65:68], v4 offset1:160
	;; [unrolled: 1-line block ×5, first 2 shown]
	s_wait_dscnt 0x3
	v_add_f32_e32 v48, v0, v65
	s_wait_dscnt 0x2
	v_sub_f32_e32 v49, v69, v65
	s_wait_dscnt 0x1
	v_dual_sub_f32 v46, v69, v73 :: v_dual_add_f32 v59, v2, v67
	s_wait_dscnt 0x0
	v_dual_sub_f32 v45, v66, v78 :: v_dual_add_nc_u32 v4, 0x800, v40
	v_add_f32_e32 v51, v1, v66
	v_dual_sub_f32 v81, v70, v66 :: v_dual_add_f32 v48, v48, v69
	v_dual_add_f32 v56, v70, v74 :: v_dual_add_f32 v61, v3, v68
	s_delay_alu instid0(VALU_DEP_3) | instskip(NEXT) | instid1(VALU_DEP_3)
	v_dual_add_f32 v51, v51, v70 :: v_dual_sub_f32 v60, v72, v76
	v_dual_sub_f32 v63, v67, v71 :: v_dual_add_f32 v48, v48, v73
	v_add_f32_e32 v82, v59, v71
	v_dual_sub_f32 v47, v65, v77 :: v_dual_add_nc_u32 v8, 0x1c00, v40
	v_dual_sub_f32 v54, v65, v69 :: v_dual_add_nc_u32 v43, 0x3000, v40
	;; [unrolled: 1-line block ×3, first 2 shown]
	v_dual_add_f32 v50, v65, v77 :: v_dual_add_f32 v53, v66, v78
	v_dual_add_f32 v64, v71, v75 :: v_dual_add_f32 v83, v61, v72
	;; [unrolled: 1-line block ×3, first 2 shown]
	v_dual_sub_f32 v65, v72, v68 :: v_dual_add_f32 v48, v82, v75
	ds_load_2addr_b64 v[4:7], v4 offset0:64 offset1:224
	ds_load_2addr_b64 v[12:15], v8 offset0:64 offset1:224
	;; [unrolled: 1-line block ×3, first 2 shown]
	v_add_f32_e32 v52, v69, v73
	v_sub_f32_e32 v44, v70, v74
	v_dual_sub_f32 v58, v71, v67 :: v_dual_sub_f32 v61, v68, v72
	v_dual_add_f32 v85, v51, v78 :: v_dual_add_f32 v62, v72, v76
	v_dual_sub_f32 v59, v71, v75 :: v_dual_sub_f32 v66, v68, v80
	ds_load_2addr_b64 v[69:72], v42 offset0:64 offset1:224
	v_dual_add_f32 v86, v67, v79 :: v_dual_sub_f32 v87, v78, v74
	v_dual_sub_f32 v67, v67, v79 :: v_dual_add_f32 v68, v68, v80
	v_add_f32_e32 v51, v83, v76
	v_sub_f32_e32 v82, v79, v75
	v_dual_sub_f32 v83, v75, v79 :: v_dual_sub_f32 v88, v80, v76
	v_dual_add_f32 v79, v48, v79 :: v_dual_add_nc_u32 v48, 0x4400, v40
	v_sub_f32_e32 v55, v77, v73
	v_dual_sub_f32 v77, v73, v77 :: v_dual_sub_f32 v78, v74, v78
	s_wait_dscnt 0x2
	v_dual_add_f32 v51, v51, v80 :: v_dual_add_f32 v90, v5, v13
	v_sub_f32_e32 v80, v76, v80
	ds_load_2addr_b64 v[73:76], v48 offset0:64 offset1:224
	v_add_f32_e32 v89, v4, v12
	s_wait_dscnt 0x2
	v_dual_sub_f32 v91, v12, v8 :: v_dual_sub_f32 v92, v13, v9
	s_wait_dscnt 0x1
	v_sub_f32_e32 v94, v12, v69
	v_dual_sub_f32 v95, v8, v12 :: v_dual_sub_f32 v96, v9, v13
	v_dual_add_f32 v97, v12, v69 :: v_dual_add_f32 v12, v6, v14
	v_dual_add_f32 v98, v14, v71 :: v_dual_sub_f32 v99, v15, v72
	v_dual_sub_f32 v100, v14, v10 :: v_dual_add_f32 v103, v7, v15
	v_dual_sub_f32 v101, v10, v14 :: v_dual_add_f32 v102, v15, v72
	v_sub_f32_e32 v104, v14, v71
	v_dual_sub_f32 v105, v15, v11 :: v_dual_add_f32 v14, v89, v8
	v_add_f32_e32 v89, v12, v10
	s_wait_dscnt 0x0
	v_dual_sub_f32 v93, v13, v70 :: v_dual_add_f32 v12, v8, v73
	v_dual_sub_f32 v106, v11, v15 :: v_dual_add_f32 v15, v90, v9
	v_dual_add_f32 v90, v103, v11 :: v_dual_sub_f32 v103, v9, v74
	v_dual_add_f32 v9, v9, v74 :: v_dual_add_f32 v14, v14, v73
	v_sub_f32_e32 v109, v11, v76
	v_fma_f32 v112, -0.5, v12, v4
	v_dual_sub_f32 v107, v8, v73 :: v_dual_add_f32 v108, v10, v75
	v_dual_add_f32 v8, v15, v74 :: v_dual_sub_f32 v111, v10, v75
	v_add_f32_e32 v14, v14, v69
	v_add_f32_e32 v110, v11, v76
	v_fma_f32 v113, -0.5, v9, v5
	v_fmamk_f32 v9, v93, 0x3f737871, v112
	v_add_f32_e32 v11, v8, v70
	v_add_f32_e32 v8, v84, v14
	;; [unrolled: 1-line block ×3, first 2 shown]
	v_fma_f32 v114, -0.5, v56, v1
	v_dual_fmac_f32 v9, 0x3f167918, v103 :: v_dual_sub_f32 v12, v70, v74
	v_sub_f32_e32 v10, v69, v73
	v_add_f32_e32 v54, v54, v55
	s_delay_alu instid0(VALU_DEP_4)
	v_fmamk_f32 v56, v47, 0xbf737871, v114
	v_fma_f32 v50, -0.5, v50, v0
	v_add_f32_e32 v49, v49, v77
	v_dual_add_f32 v55, v91, v10 :: v_dual_fmamk_f32 v10, v94, 0xbf737871, v113
	v_fma_f32 v53, -0.5, v53, v1
	v_dual_fmac_f32 v113, 0x3f737871, v94 :: v_dual_fmac_f32 v114, 0x3f737871, v47
	s_delay_alu instid0(VALU_DEP_3)
	v_fmac_f32_e32 v9, 0x3e9e377a, v55
	v_add_f32_e32 v91, v92, v12
	v_fma_f32 v92, -0.5, v52, v0
	v_add_f32_e32 v52, v57, v87
	v_dual_fmac_f32 v113, 0x3f167918, v107 :: v_dual_fmac_f32 v114, 0x3f167918, v46
	v_mul_f32_e32 v57, 0x3f4f1bbd, v9
	v_mul_f32_e32 v87, 0xbf167918, v9
	v_add_f32_e32 v9, v85, v11
	v_fmac_f32_e32 v10, 0xbf167918, v107
	v_fmamk_f32 v15, v45, 0x3f737871, v92
	v_dual_sub_f32 v11, v85, v11 :: v_dual_fmac_f32 v56, 0xbf167918, v46
	v_fma_f32 v85, -0.5, v97, v4
	s_delay_alu instid0(VALU_DEP_4) | instskip(SKIP_1) | instid1(VALU_DEP_4)
	v_fmac_f32_e32 v10, 0x3e9e377a, v91
	v_dual_fmac_f32 v113, 0x3e9e377a, v91 :: v_dual_fmac_f32 v114, 0x3e9e377a, v52
	v_fmac_f32_e32 v56, 0x3e9e377a, v52
	global_wb scope:SCOPE_SE
	v_fmac_f32_e32 v57, 0x3f167918, v10
	v_fmac_f32_e32 v87, 0x3f4f1bbd, v10
	v_sub_f32_e32 v10, v84, v14
	v_fma_f32 v84, -0.5, v13, v5
	v_dual_sub_f32 v5, v74, v70 :: v_dual_fmamk_f32 v70, v44, 0xbf737871, v50
	v_fmac_f32_e32 v15, 0x3f167918, v44
	v_fmac_f32_e32 v50, 0x3f737871, v44
	s_delay_alu instid0(VALU_DEP_4)
	v_fmamk_f32 v14, v107, 0x3f737871, v84
	v_fmac_f32_e32 v84, 0xbf737871, v107
	v_fmac_f32_e32 v70, 0x3f167918, v45
	;; [unrolled: 1-line block ×5, first 2 shown]
	s_barrier_signal -1
	v_fmac_f32_e32 v70, 0x3e9e377a, v49
	v_add_f32_e32 v12, v15, v57
	v_sub_f32_e32 v4, v15, v57
	v_sub_f32_e32 v15, v73, v69
	v_add_f32_e32 v13, v56, v87
	v_fmamk_f32 v57, v103, 0xbf737871, v85
	v_add_f32_e32 v69, v96, v5
	v_fmac_f32_e32 v85, 0x3f737871, v103
	v_dual_add_f32 v15, v95, v15 :: v_dual_fmac_f32 v50, 0x3e9e377a, v49
	s_delay_alu instid0(VALU_DEP_4) | instskip(NEXT) | instid1(VALU_DEP_4)
	v_fmac_f32_e32 v57, 0x3f167918, v93
	v_fmac_f32_e32 v14, 0x3e9e377a, v69
	v_fmamk_f32 v73, v46, 0x3f737871, v53
	v_fmac_f32_e32 v53, 0xbf737871, v46
	v_fmac_f32_e32 v84, 0x3f167918, v94
	;; [unrolled: 1-line block ×3, first 2 shown]
	v_add_f32_e32 v77, v81, v78
	v_mul_f32_e32 v74, 0x3f737871, v14
	v_fmac_f32_e32 v53, 0x3f167918, v47
	v_fmac_f32_e32 v73, 0xbf167918, v47
	v_mul_f32_e32 v78, 0xbf737871, v57
	v_fmac_f32_e32 v84, 0x3e9e377a, v69
	v_mul_f32_e32 v47, 0x3f4f1bbd, v113
	v_fmac_f32_e32 v53, 0x3e9e377a, v77
	v_fmac_f32_e32 v112, 0xbf737871, v93
	;; [unrolled: 1-line block ×3, first 2 shown]
	v_dual_fmac_f32 v78, 0x3e9e377a, v14 :: v_dual_fmac_f32 v73, 0x3e9e377a, v77
	v_dual_fmac_f32 v74, 0x3e9e377a, v57 :: v_dual_sub_f32 v5, v56, v87
	s_delay_alu instid0(VALU_DEP_4) | instskip(NEXT) | instid1(VALU_DEP_4)
	v_fmac_f32_e32 v112, 0xbf167918, v103
	v_fmac_f32_e32 v85, 0x3e9e377a, v15
	s_delay_alu instid0(VALU_DEP_4) | instskip(SKIP_1) | instid1(VALU_DEP_3)
	v_dual_sub_f32 v15, v73, v78 :: v_dual_mul_f32 v56, 0x3e9e377a, v84
	v_fma_f32 v69, -0.5, v64, v2
	v_dual_fmac_f32 v112, 0x3e9e377a, v55 :: v_dual_mul_f32 v49, 0x3e9e377a, v85
	v_fma_f32 v2, -0.5, v86, v2
	s_delay_alu instid0(VALU_DEP_4) | instskip(SKIP_1) | instid1(VALU_DEP_4)
	v_fma_f32 v56, 0xbf737871, v85, -v56
	v_add_f32_e32 v1, v73, v78
	v_fma_f32 v47, 0xbf167918, v112, -v47
	v_fma_f32 v49, 0x3f737871, v84, -v49
	v_fmac_f32_e32 v92, 0xbf737871, v45
	v_add_f32_e32 v46, v53, v56
	v_sub_f32_e32 v53, v53, v56
	v_add_f32_e32 v55, v114, v47
	s_delay_alu instid0(VALU_DEP_4) | instskip(SKIP_2) | instid1(VALU_DEP_3)
	v_dual_add_f32 v45, v50, v49 :: v_dual_fmac_f32 v92, 0xbf167918, v44
	v_dual_mul_f32 v44, 0x3f4f1bbd, v112 :: v_dual_sub_f32 v57, v114, v47
	v_dual_sub_f32 v52, v50, v49 :: v_dual_fmamk_f32 v47, v60, 0xbf737871, v2
	v_fmac_f32_e32 v92, 0x3e9e377a, v54
	s_delay_alu instid0(VALU_DEP_3) | instskip(SKIP_3) | instid1(VALU_DEP_4)
	v_fma_f32 v44, 0x3f167918, v113, -v44
	v_fmamk_f32 v49, v66, 0x3f737871, v69
	v_dual_fmac_f32 v69, 0xbf737871, v66 :: v_dual_add_f32 v50, v58, v83
	v_add_f32_e32 v58, v61, v88
	v_sub_f32_e32 v56, v92, v44
	v_add_f32_e32 v54, v92, v44
	v_dual_add_f32 v44, v63, v82 :: v_dual_fmac_f32 v49, 0x3f167918, v60
	v_fmac_f32_e32 v69, 0xbf167918, v60
	v_fma_f32 v61, -0.5, v98, v6
	v_fmac_f32_e32 v2, 0x3f737871, v60
	v_add_f32_e32 v60, v89, v75
	s_delay_alu instid0(VALU_DEP_4) | instskip(NEXT) | instid1(VALU_DEP_4)
	v_dual_add_f32 v0, v70, v74 :: v_dual_fmac_f32 v69, 0x3e9e377a, v44
	v_fmamk_f32 v64, v109, 0xbf737871, v61
	v_fmac_f32_e32 v61, 0x3f737871, v109
	v_fmac_f32_e32 v2, 0xbf167918, v66
	;; [unrolled: 1-line block ×3, first 2 shown]
	v_fma_f32 v44, -0.5, v62, v3
	v_dual_fmac_f32 v3, -0.5, v68 :: v_dual_sub_f32 v14, v70, v74
	v_fmac_f32_e32 v61, 0xbf167918, v99
	s_barrier_wait -1
	s_delay_alu instid0(VALU_DEP_3)
	v_fmamk_f32 v73, v67, 0xbf737871, v44
	v_fmac_f32_e32 v44, 0x3f737871, v67
	v_fmac_f32_e32 v47, 0x3f167918, v66
	v_fmamk_f32 v74, v59, 0x3f737871, v3
	global_inv scope:SCOPE_SE
	v_fmac_f32_e32 v73, 0xbf167918, v59
	v_fmac_f32_e32 v44, 0x3f167918, v59
	;; [unrolled: 1-line block ×4, first 2 shown]
	v_fma_f32 v50, -0.5, v108, v6
	v_sub_f32_e32 v6, v75, v71
	v_fmac_f32_e32 v3, 0xbf737871, v59
	v_dual_add_f32 v59, v65, v80 :: v_dual_fmac_f32 v74, 0xbf167918, v67
	v_fmac_f32_e32 v73, 0x3e9e377a, v58
	v_fmac_f32_e32 v44, 0x3e9e377a, v58
	v_fmamk_f32 v63, v99, 0x3f737871, v50
	v_sub_f32_e32 v58, v71, v75
	v_fmac_f32_e32 v74, 0x3e9e377a, v59
	s_delay_alu instid0(VALU_DEP_2) | instskip(NEXT) | instid1(VALU_DEP_1)
	v_dual_fmac_f32 v63, 0x3f167918, v109 :: v_dual_add_f32 v58, v100, v58
	v_fmac_f32_e32 v63, 0x3e9e377a, v58
	v_dual_add_f32 v6, v101, v6 :: v_dual_fmac_f32 v3, 0x3f167918, v67
	v_dual_add_f32 v67, v60, v71 :: v_dual_add_f32 v60, v90, v76
	s_delay_alu instid0(VALU_DEP_1) | instskip(NEXT) | instid1(VALU_DEP_1)
	v_dual_fmac_f32 v50, 0xbf737871, v99 :: v_dual_add_f32 v71, v60, v72
	v_fmac_f32_e32 v50, 0xbf167918, v109
	s_delay_alu instid0(VALU_DEP_1) | instskip(SKIP_3) | instid1(VALU_DEP_1)
	v_fmac_f32_e32 v50, 0x3e9e377a, v58
	v_dual_sub_f32 v58, v76, v72 :: v_dual_fmac_f32 v3, 0x3e9e377a, v59
	v_fma_f32 v59, -0.5, v110, v7
	v_fmac_f32_e32 v7, -0.5, v102
	v_dual_add_f32 v58, v106, v58 :: v_dual_fmamk_f32 v65, v111, 0x3f737871, v7
	v_fmac_f32_e32 v7, 0xbf737871, v111
	s_delay_alu instid0(VALU_DEP_1) | instskip(NEXT) | instid1(VALU_DEP_1)
	v_dual_fmac_f32 v64, 0x3f167918, v99 :: v_dual_fmac_f32 v7, 0x3f167918, v104
	v_fmac_f32_e32 v64, 0x3e9e377a, v6
	v_fmamk_f32 v66, v104, 0xbf737871, v59
	v_fmac_f32_e32 v59, 0x3f737871, v104
	s_delay_alu instid0(VALU_DEP_3) | instskip(NEXT) | instid1(VALU_DEP_3)
	v_mul_f32_e32 v77, 0xbf737871, v64
	v_dual_fmac_f32 v65, 0xbf167918, v104 :: v_dual_fmac_f32 v66, 0xbf167918, v111
	s_delay_alu instid0(VALU_DEP_1) | instskip(NEXT) | instid1(VALU_DEP_1)
	v_fmac_f32_e32 v65, 0x3e9e377a, v58
	v_mul_f32_e32 v70, 0x3f737871, v65
	v_dual_fmac_f32 v61, 0x3e9e377a, v6 :: v_dual_sub_f32 v6, v72, v76
	v_fmac_f32_e32 v77, 0x3e9e377a, v65
	v_mul_f32_e32 v76, 0xbf167918, v63
	s_delay_alu instid0(VALU_DEP_4) | instskip(NEXT) | instid1(VALU_DEP_4)
	v_dual_fmac_f32 v70, 0x3e9e377a, v64 :: v_dual_fmac_f32 v7, 0x3e9e377a, v58
	v_mul_f32_e32 v58, 0x3e9e377a, v61
	v_add_f32_e32 v6, v105, v6
	s_delay_alu instid0(VALU_DEP_2) | instskip(NEXT) | instid1(VALU_DEP_2)
	v_fma_f32 v72, 0x3f737871, v7, -v58
	v_dual_fmac_f32 v66, 0x3e9e377a, v6 :: v_dual_mul_f32 v7, 0x3e9e377a, v7
	v_dual_mul_f32 v68, 0x3f4f1bbd, v63 :: v_dual_mul_f32 v75, 0x3f4f1bbd, v50
	v_fmac_f32_e32 v59, 0x3f167918, v111
	s_delay_alu instid0(VALU_DEP_3) | instskip(NEXT) | instid1(VALU_DEP_3)
	v_fma_f32 v78, 0xbf737871, v61, -v7
	v_dual_fmac_f32 v68, 0x3f167918, v66 :: v_dual_add_f32 v61, v74, v77
	s_delay_alu instid0(VALU_DEP_3) | instskip(SKIP_1) | instid1(VALU_DEP_3)
	v_dual_fmac_f32 v59, 0x3e9e377a, v6 :: v_dual_add_f32 v6, v79, v67
	v_fmac_f32_e32 v76, 0x3f4f1bbd, v66
	v_add_f32_e32 v58, v49, v68
	v_sub_f32_e32 v66, v79, v67
	s_delay_alu instid0(VALU_DEP_4) | instskip(SKIP_4) | instid1(VALU_DEP_4)
	v_fma_f32 v75, 0x3f167918, v59, -v75
	v_dual_mul_f32 v59, 0x3f4f1bbd, v59 :: v_dual_sub_f32 v68, v49, v68
	v_and_b32_e32 v49, 0xffff, v20
	v_sub_f32_e32 v67, v51, v71
	v_add_f32_e32 v60, v47, v70
	v_fma_f32 v50, 0xbf167918, v50, -v59
	v_dual_add_f32 v59, v73, v76 :: v_dual_sub_f32 v70, v47, v70
	v_mul_u32_u24_e32 v47, 0xcccd, v49
	v_dual_add_f32 v62, v2, v72 :: v_dual_add_f32 v63, v3, v78
	s_delay_alu instid0(VALU_DEP_4)
	v_dual_add_f32 v64, v69, v75 :: v_dual_add_f32 v65, v44, v50
	v_dual_sub_f32 v2, v2, v72 :: v_dual_sub_f32 v3, v3, v78
	v_sub_f32_e32 v72, v69, v75
	v_sub_f32_e32 v69, v73, v76
	;; [unrolled: 1-line block ×3, first 2 shown]
	v_lshrrev_b32_e32 v50, 19, v47
	v_dual_add_f32 v7, v51, v71 :: v_dual_and_b32 v44, 0xff, v16
	v_sub_f32_e32 v71, v74, v77
	v_mad_u32_u24 v74, 0x48, v16, v40
	s_delay_alu instid0(VALU_DEP_4) | instskip(NEXT) | instid1(VALU_DEP_4)
	v_mul_lo_u16 v47, v50, 10
	v_mul_lo_u16 v44, 0xcd, v44
	v_mul_i32_i24_e32 v49, 10, v20
	ds_store_2addr_b64 v74, v[8:9], v[12:13] offset1:1
	ds_store_2addr_b64 v74, v[0:1], v[45:46] offset0:2 offset1:3
	v_sub_nc_u16 v47, v20, v47
	v_lshrrev_b16 v51, 11, v44
	v_lshl_add_u32 v46, v49, 3, 0
	ds_store_2addr_b64 v74, v[54:55], v[10:11] offset0:4 offset1:5
	ds_store_2addr_b64 v74, v[4:5], v[14:15] offset0:6 offset1:7
	;; [unrolled: 1-line block ×3, first 2 shown]
	ds_store_2addr_b64 v46, v[6:7], v[58:59] offset1:1
	ds_store_2addr_b64 v46, v[60:61], v[62:63] offset0:2 offset1:3
	ds_store_2addr_b64 v46, v[64:65], v[66:67] offset0:4 offset1:5
	;; [unrolled: 1-line block ×4, first 2 shown]
	v_and_b32_e32 v49, 0xffff, v47
	v_mul_lo_u16 v0, v51, 10
	global_wb scope:SCOPE_SE
	s_wait_dscnt 0x0
	s_barrier_signal -1
	s_barrier_wait -1
	v_mul_u32_u24_e32 v1, 9, v49
	v_sub_nc_u16 v0, v16, v0
	global_inv scope:SCOPE_SE
	v_lshl_add_u32 v47, v34, 3, 0
	v_lshlrev_b32_e32 v44, 3, v1
	v_and_b32_e32 v52, 0xff, v0
	global_load_b128 v[0:3], v44, s[4:5]
	v_mul_u32_u24_e32 v4, 9, v52
	s_delay_alu instid0(VALU_DEP_1)
	v_lshlrev_b32_e32 v45, 3, v4
	s_clause 0x8
	global_load_b128 v[4:7], v44, s[4:5] offset:16
	global_load_b128 v[8:11], v45, s[4:5] offset:32
	;; [unrolled: 1-line block ×3, first 2 shown]
	global_load_b128 v[63:66], v45, s[4:5]
	global_load_b128 v[67:70], v45, s[4:5] offset:16
	global_load_b128 v[71:74], v45, s[4:5] offset:48
	;; [unrolled: 1-line block ×3, first 2 shown]
	global_load_b64 v[95:96], v45, s[4:5] offset:64
	global_load_b64 v[97:98], v44, s[4:5] offset:64
	v_add_nc_u32_e32 v44, 0x100, v40
	ds_load_2addr_stride64_b64 v[79:82], v44 offset0:7 offset1:12
	ds_load_2addr_stride64_b64 v[83:86], v44 offset0:17 offset1:22
	ds_load_2addr_b64 v[87:90], v43 offset0:64 offset1:224
	ds_load_2addr_b64 v[91:94], v39 offset1:160
	v_lshl_add_u32 v45, v32, 3, 0
	v_lshl_add_u32 v44, v28, 3, 0
	;; [unrolled: 1-line block ×3, first 2 shown]
	s_wait_loadcnt_dscnt 0x903
	v_mul_f32_e32 v59, v81, v3
	v_mul_f32_e32 v39, v80, v1
	;; [unrolled: 1-line block ×4, first 2 shown]
	s_wait_loadcnt_dscnt 0x600
	v_dual_mul_f32 v99, v87, v9 :: v_dual_mul_f32 v62, v93, v15
	v_fma_f32 v54, v79, v0, -v39
	v_fmac_f32_e32 v53, v80, v0
	v_fma_f32 v101, v81, v2, -v1
	ds_load_b64 v[0:1], v47
	ds_load_b64 v[79:80], v45
	v_dual_mul_f32 v3, v84, v5 :: v_dual_mul_f32 v100, v91, v11
	v_mul_f32_e32 v55, v83, v5
	v_fmac_f32_e32 v59, v82, v2
	ds_load_b64 v[81:82], v44
	v_fma_f32 v57, v83, v4, -v3
	v_fmac_f32_e32 v100, v92, v10
	v_fmac_f32_e32 v55, v84, v4
	ds_load_b64 v[83:84], v43
	v_dual_mul_f32 v5, v86, v7 :: v_dual_mul_f32 v56, v89, v13
	v_dual_mul_f32 v60, v85, v7 :: v_dual_mul_f32 v7, v88, v9
	v_mul_f32_e32 v2, v94, v15
	s_delay_alu instid0(VALU_DEP_3) | instskip(NEXT) | instid1(VALU_DEP_4)
	v_dual_mul_f32 v9, v92, v11 :: v_dual_fmac_f32 v56, v90, v12
	v_fma_f32 v61, v85, v6, -v5
	s_delay_alu instid0(VALU_DEP_4)
	v_fmac_f32_e32 v60, v86, v6
	v_fma_f32 v39, v87, v8, -v7
	v_fmac_f32_e32 v99, v88, v8
	v_fma_f32 v85, v91, v10, -v9
	v_fma_f32 v86, v93, v14, -v2
	v_fmac_f32_e32 v62, v94, v14
	ds_load_2addr_b64 v[2:5], v48 offset0:64 offset1:224
	ds_load_b64 v[14:15], v40
	ds_load_2addr_b64 v[6:9], v38 offset1:160
	s_wait_loadcnt_dscnt 0x505
	v_mul_f32_e32 v38, v66, v79
	v_mul_f32_e32 v11, v90, v13
	;; [unrolled: 1-line block ×4, first 2 shown]
	v_mad_i32_i24 v48, 0xffffffb8, v20, v46
	v_fmac_f32_e32 v38, v65, v80
	v_fma_f32 v58, v89, v12, -v11
	s_wait_loadcnt_dscnt 0x403
	v_dual_mul_f32 v11, v66, v80 :: v_dual_mul_f32 v66, v84, v70
	v_fma_f32 v88, v63, v0, -v10
	v_fmac_f32_e32 v87, v63, v1
	v_mul_f32_e32 v63, v68, v82
	s_delay_alu instid0(VALU_DEP_4)
	v_fma_f32 v64, v65, v79, -v11
	ds_load_2addr_b64 v[10:13], v42 offset0:64 offset1:224
	v_dual_mul_f32 v65, v68, v81 :: v_dual_mul_f32 v68, v83, v70
	v_fma_f32 v70, v67, v81, -v63
	v_fma_f32 v66, v83, v69, -v66
	s_wait_loadcnt_dscnt 0x303
	v_mul_f32_e32 v63, v3, v72
	v_dual_fmac_f32 v65, v67, v82 :: v_dual_fmac_f32 v68, v84, v69
	v_mul_f32_e32 v67, v2, v72
	s_wait_dscnt 0x1
	v_mul_f32_e32 v69, v7, v74
	v_mul_f32_e32 v72, v6, v74
	s_wait_loadcnt 0x2
	v_mul_f32_e32 v74, v5, v76
	ds_load_b64 v[0:1], v48
	v_fmac_f32_e32 v67, v3, v71
	v_fma_f32 v3, v6, v73, -v69
	v_fmac_f32_e32 v72, v7, v73
	v_fma_f32 v69, v4, v75, -v74
	v_add_f32_e32 v6, v66, v85
	v_fma_f32 v2, v2, v71, -v63
	v_dual_mul_f32 v63, v4, v76 :: v_dual_mul_f32 v4, v9, v78
	v_mul_f32_e32 v71, v8, v78
	s_delay_alu instid0(VALU_DEP_4) | instskip(NEXT) | instid1(VALU_DEP_3)
	v_fma_f32 v74, -0.5, v6, v14
	v_dual_sub_f32 v6, v38, v72 :: v_dual_fmac_f32 v63, v5, v75
	s_delay_alu instid0(VALU_DEP_4)
	v_fma_f32 v73, v8, v77, -v4
	s_wait_loadcnt_dscnt 0x101
	v_mul_f32_e32 v4, v10, v96
	v_mul_f32_e32 v5, v11, v96
	v_dual_fmac_f32 v71, v9, v77 :: v_dual_add_f32 v76, v64, v3
	v_add_f32_e32 v8, v14, v64
	s_delay_alu instid0(VALU_DEP_4)
	v_fmac_f32_e32 v4, v11, v95
	v_fmamk_f32 v9, v6, 0x3f737871, v74
	v_dual_sub_f32 v11, v3, v85 :: v_dual_fmac_f32 v74, 0xbf737871, v6
	s_wait_loadcnt 0x0
	v_mul_f32_e32 v7, v13, v98
	v_fma_f32 v5, v10, v95, -v5
	v_sub_f32_e32 v10, v64, v66
	v_mul_f32_e32 v77, v12, v98
	v_add_f32_e32 v78, v68, v100
	v_fma_f32 v75, v12, v97, -v7
	v_add_f32_e32 v7, v8, v66
	v_sub_f32_e32 v8, v68, v100
	v_add_f32_e32 v10, v10, v11
	v_fma_f32 v11, -0.5, v76, v14
	s_delay_alu instid0(VALU_DEP_4) | instskip(SKIP_1) | instid1(VALU_DEP_3)
	v_dual_sub_f32 v14, v85, v3 :: v_dual_add_f32 v7, v7, v85
	v_dual_add_f32 v76, v15, v38 :: v_dual_fmac_f32 v77, v13, v97
	v_fmamk_f32 v13, v8, 0xbf737871, v11
	v_fmac_f32_e32 v74, 0xbf167918, v8
	s_delay_alu instid0(VALU_DEP_4)
	v_dual_add_f32 v12, v7, v3 :: v_dual_fmac_f32 v9, 0x3f167918, v8
	v_sub_f32_e32 v7, v66, v64
	v_sub_f32_e32 v3, v64, v3
	v_fmac_f32_e32 v11, 0x3f737871, v8
	v_add_f32_e32 v8, v76, v68
	v_fma_f32 v76, -0.5, v78, v15
	v_fmac_f32_e32 v9, 0x3e9e377a, v10
	v_fmac_f32_e32 v13, 0x3f167918, v6
	;; [unrolled: 1-line block ×3, first 2 shown]
	v_dual_sub_f32 v10, v66, v85 :: v_dual_add_f32 v7, v7, v14
	v_sub_f32_e32 v14, v38, v68
	v_fmamk_f32 v78, v3, 0xbf737871, v76
	v_sub_f32_e32 v64, v72, v100
	s_delay_alu instid0(VALU_DEP_4)
	v_dual_sub_f32 v66, v2, v5 :: v_dual_fmac_f32 v13, 0x3e9e377a, v7
	global_wb scope:SCOPE_SE
	s_wait_dscnt 0x0
	v_fmac_f32_e32 v78, 0xbf167918, v10
	v_fmac_f32_e32 v76, 0x3f737871, v3
	v_dual_fmac_f32 v11, 0xbf167918, v6 :: v_dual_add_f32 v6, v8, v100
	v_add_f32_e32 v8, v38, v72
	s_barrier_signal -1
	s_barrier_wait -1
	global_inv scope:SCOPE_SE
	v_add_f32_e32 v79, v6, v72
	v_add_f32_e32 v6, v14, v64
	v_dual_add_f32 v14, v88, v70 :: v_dual_fmac_f32 v15, -0.5, v8
	v_dual_fmac_f32 v11, 0x3e9e377a, v7 :: v_dual_sub_f32 v8, v100, v72
	v_sub_f32_e32 v7, v68, v38
	s_delay_alu instid0(VALU_DEP_4) | instskip(NEXT) | instid1(VALU_DEP_4)
	v_fmac_f32_e32 v78, 0x3e9e377a, v6
	v_fmamk_f32 v80, v10, 0x3f737871, v15
	v_fmac_f32_e32 v76, 0x3f167918, v10
	v_fmac_f32_e32 v15, 0xbf737871, v10
	v_dual_add_f32 v7, v7, v8 :: v_dual_add_f32 v8, v14, v39
	v_add_f32_e32 v10, v39, v2
	v_fmac_f32_e32 v80, 0xbf167918, v3
	s_delay_alu instid0(VALU_DEP_4)
	v_fmac_f32_e32 v15, 0x3f167918, v3
	v_fmac_f32_e32 v76, 0x3e9e377a, v6
	v_add_f32_e32 v3, v8, v2
	v_fma_f32 v8, -0.5, v10, v88
	v_add_f32_e32 v6, v70, v5
	v_dual_sub_f32 v10, v65, v4 :: v_dual_fmac_f32 v15, 0x3e9e377a, v7
	s_delay_alu instid0(VALU_DEP_4) | instskip(NEXT) | instid1(VALU_DEP_3)
	v_add_f32_e32 v14, v3, v5
	v_dual_sub_f32 v3, v99, v67 :: v_dual_fmac_f32 v88, -0.5, v6
	v_dual_sub_f32 v38, v5, v2 :: v_dual_sub_f32 v5, v70, v5
	v_fmac_f32_e32 v80, 0x3e9e377a, v7
	v_sub_f32_e32 v7, v70, v39
	v_fmamk_f32 v6, v10, 0x3f737871, v8
	v_fmac_f32_e32 v8, 0xbf737871, v10
	v_sub_f32_e32 v2, v39, v2
	v_fmamk_f32 v68, v3, 0xbf737871, v88
	s_delay_alu instid0(VALU_DEP_4) | instskip(NEXT) | instid1(VALU_DEP_4)
	v_dual_add_f32 v7, v7, v38 :: v_dual_fmac_f32 v6, 0x3f167918, v3
	v_fmac_f32_e32 v8, 0xbf167918, v3
	v_fmac_f32_e32 v88, 0x3f737871, v3
	v_add_f32_e32 v3, v99, v67
	s_delay_alu instid0(VALU_DEP_4) | instskip(NEXT) | instid1(VALU_DEP_4)
	v_dual_fmac_f32 v6, 0x3e9e377a, v7 :: v_dual_lshlrev_b32 v49, 3, v49
	v_dual_fmac_f32 v8, 0x3e9e377a, v7 :: v_dual_add_f32 v7, v65, v4
	s_delay_alu instid0(VALU_DEP_4) | instskip(NEXT) | instid1(VALU_DEP_4)
	v_fmac_f32_e32 v88, 0xbf167918, v10
	v_fma_f32 v3, -0.5, v3, v87
	v_dual_sub_f32 v64, v39, v70 :: v_dual_sub_f32 v39, v4, v67
	v_fmac_f32_e32 v68, 0x3f167918, v10
	v_dual_add_f32 v10, v87, v65 :: v_dual_fmac_f32 v87, -0.5, v7
	s_delay_alu instid0(VALU_DEP_4) | instskip(SKIP_1) | instid1(VALU_DEP_3)
	v_fmamk_f32 v7, v5, 0xbf737871, v3
	v_fmac_f32_e32 v3, 0x3f737871, v5
	v_fmamk_f32 v70, v2, 0x3f737871, v87
	s_delay_alu instid0(VALU_DEP_4) | instskip(SKIP_2) | instid1(VALU_DEP_4)
	v_dual_fmac_f32 v87, 0xbf737871, v2 :: v_dual_add_f32 v10, v10, v99
	v_add_f32_e32 v38, v64, v66
	v_sub_f32_e32 v64, v99, v65
	v_fmac_f32_e32 v70, 0xbf167918, v5
	s_delay_alu instid0(VALU_DEP_4) | instskip(NEXT) | instid1(VALU_DEP_4)
	v_fmac_f32_e32 v87, 0x3f167918, v5
	v_dual_add_f32 v5, v10, v67 :: v_dual_fmac_f32 v68, 0x3e9e377a, v38
	v_fmac_f32_e32 v88, 0x3e9e377a, v38
	v_dual_sub_f32 v38, v65, v99 :: v_dual_sub_f32 v65, v67, v4
	s_delay_alu instid0(VALU_DEP_3) | instskip(NEXT) | instid1(VALU_DEP_2)
	v_add_f32_e32 v72, v5, v4
	v_dual_add_f32 v38, v38, v39 :: v_dual_add_f32 v39, v64, v65
	v_add_f32_e32 v64, v12, v14
	s_delay_alu instid0(VALU_DEP_2) | instskip(SKIP_1) | instid1(VALU_DEP_2)
	v_fmac_f32_e32 v70, 0x3e9e377a, v39
	v_fmac_f32_e32 v87, 0x3e9e377a, v39
	v_mul_f32_e32 v39, 0x3f737871, v70
	s_delay_alu instid0(VALU_DEP_2) | instskip(NEXT) | instid1(VALU_DEP_2)
	v_mul_f32_e32 v5, 0x3e9e377a, v87
	v_fmac_f32_e32 v39, 0x3e9e377a, v68
	v_mul_f32_e32 v68, 0xbf737871, v68
	v_fmac_f32_e32 v7, 0xbf167918, v2
	v_fmac_f32_e32 v3, 0x3f167918, v2
	s_delay_alu instid0(VALU_DEP_3) | instskip(SKIP_1) | instid1(VALU_DEP_1)
	v_fmac_f32_e32 v68, 0x3e9e377a, v70
	v_fma_f32 v70, 0xbf737871, v88, -v5
	v_add_f32_e32 v5, v15, v70
	v_fmac_f32_e32 v7, 0x3e9e377a, v38
	v_fmac_f32_e32 v3, 0x3e9e377a, v38
	v_mul_f32_e32 v81, 0xbf167918, v6
	v_dual_mul_f32 v4, 0x3f4f1bbd, v8 :: v_dual_sub_f32 v15, v15, v70
	s_delay_alu instid0(VALU_DEP_4) | instskip(NEXT) | instid1(VALU_DEP_3)
	v_mul_f32_e32 v10, 0x3f167918, v7
	v_dual_sub_f32 v70, v101, v61 :: v_dual_fmac_f32 v81, 0x3f4f1bbd, v7
	v_mul_f32_e32 v2, 0x3e9e377a, v88
	s_delay_alu instid0(VALU_DEP_4)
	v_fma_f32 v82, 0x3f167918, v3, -v4
	v_mul_f32_e32 v3, 0x3f4f1bbd, v3
	v_add_f32_e32 v65, v79, v72
	v_add_f32_e32 v67, v78, v81
	v_fma_f32 v38, 0x3f737871, v87, -v2
	v_add_f32_e32 v2, v13, v39
	v_fma_f32 v83, 0xbf167918, v8, -v3
	v_sub_f32_e32 v8, v12, v14
	v_add_f32_e32 v14, v61, v86
	v_dual_sub_f32 v12, v13, v39 :: v_dual_add_f32 v13, v0, v101
	v_fmac_f32_e32 v10, 0x3f4f1bbd, v6
	v_add_f32_e32 v4, v11, v38
	v_dual_add_f32 v6, v74, v82 :: v_dual_add_f32 v7, v76, v83
	s_delay_alu instid0(VALU_DEP_4) | instskip(NEXT) | instid1(VALU_DEP_4)
	v_add_f32_e32 v39, v13, v61
	v_add_f32_e32 v66, v9, v10
	v_dual_sub_f32 v10, v9, v10 :: v_dual_sub_f32 v9, v79, v72
	v_fma_f32 v79, -0.5, v14, v0
	v_sub_f32_e32 v72, v59, v71
	v_dual_sub_f32 v14, v11, v38 :: v_dual_sub_f32 v11, v78, v81
	v_sub_f32_e32 v81, v73, v86
	v_sub_f32_e32 v38, v74, v82
	s_delay_alu instid0(VALU_DEP_2)
	v_add_f32_e32 v70, v70, v81
	v_sub_f32_e32 v81, v86, v73
	v_add_f32_e32 v3, v80, v68
	v_dual_sub_f32 v13, v80, v68 :: v_dual_add_f32 v68, v39, v86
	v_dual_sub_f32 v39, v76, v83 :: v_dual_sub_f32 v80, v61, v101
	v_add_f32_e32 v83, v60, v62
	v_dual_fmamk_f32 v74, v72, 0x3f737871, v79 :: v_dual_sub_f32 v61, v61, v86
	v_dual_sub_f32 v78, v60, v62 :: v_dual_fmac_f32 v79, 0xbf737871, v72
	v_add_f32_e32 v68, v68, v73
	v_add_f32_e32 v80, v80, v81
	v_fma_f32 v81, -0.5, v83, v1
	v_sub_f32_e32 v83, v71, v62
	v_dual_fmac_f32 v79, 0xbf167918, v78 :: v_dual_add_f32 v82, v101, v73
	v_dual_sub_f32 v73, v101, v73 :: v_dual_fmac_f32 v74, 0x3f167918, v78
	s_delay_alu instid0(VALU_DEP_2) | instskip(NEXT) | instid1(VALU_DEP_3)
	v_fmac_f32_e32 v79, 0x3e9e377a, v70
	v_fma_f32 v0, -0.5, v82, v0
	v_add_f32_e32 v82, v1, v59
	s_delay_alu instid0(VALU_DEP_2) | instskip(SKIP_1) | instid1(VALU_DEP_3)
	v_fmamk_f32 v76, v78, 0xbf737871, v0
	v_fmac_f32_e32 v0, 0x3f737871, v78
	v_add_f32_e32 v78, v82, v60
	v_sub_f32_e32 v82, v59, v60
	s_delay_alu instid0(VALU_DEP_4) | instskip(NEXT) | instid1(VALU_DEP_4)
	v_fmac_f32_e32 v76, 0x3f167918, v72
	v_fmac_f32_e32 v0, 0xbf167918, v72
	v_add_f32_e32 v72, v59, v71
	v_sub_f32_e32 v59, v60, v59
	v_sub_f32_e32 v60, v62, v71
	v_fmac_f32_e32 v76, 0x3e9e377a, v80
	v_fmac_f32_e32 v0, 0x3e9e377a, v80
	v_dual_fmac_f32 v1, -0.5, v72 :: v_dual_sub_f32 v72, v75, v69
	s_delay_alu instid0(VALU_DEP_4) | instskip(SKIP_4) | instid1(VALU_DEP_4)
	v_dual_add_f32 v59, v59, v60 :: v_dual_fmac_f32 v74, 0x3e9e377a, v70
	v_add_f32_e32 v70, v78, v62
	v_fmamk_f32 v78, v73, 0xbf737871, v81
	v_fmac_f32_e32 v81, 0x3f737871, v73
	v_add_f32_e32 v62, v54, v57
	v_add_f32_e32 v80, v70, v71
	s_delay_alu instid0(VALU_DEP_4)
	v_fmac_f32_e32 v78, 0xbf167918, v61
	v_add_f32_e32 v70, v82, v83
	v_fmamk_f32 v82, v61, 0x3f737871, v1
	v_fmac_f32_e32 v81, 0x3f167918, v61
	v_fmac_f32_e32 v1, 0xbf737871, v61
	v_add_f32_e32 v61, v58, v69
	v_add_f32_e32 v60, v62, v58
	v_sub_f32_e32 v83, v58, v57
	s_delay_alu instid0(VALU_DEP_4) | instskip(NEXT) | instid1(VALU_DEP_4)
	v_fmac_f32_e32 v1, 0x3f167918, v73
	v_fma_f32 v62, -0.5, v61, v54
	v_add_f32_e32 v61, v57, v75
	s_delay_alu instid0(VALU_DEP_1) | instskip(SKIP_4) | instid1(VALU_DEP_4)
	v_dual_fmac_f32 v1, 0x3e9e377a, v59 :: v_dual_fmac_f32 v54, -0.5, v61
	v_sub_f32_e32 v61, v57, v58
	v_sub_f32_e32 v57, v57, v75
	;; [unrolled: 1-line block ×4, first 2 shown]
	v_dual_add_f32 v60, v60, v69 :: v_dual_add_f32 v61, v61, v72
	v_sub_f32_e32 v69, v55, v56
	s_delay_alu instid0(VALU_DEP_4) | instskip(SKIP_3) | instid1(VALU_DEP_2)
	v_add_f32_e32 v72, v83, v84
	v_dual_sub_f32 v83, v63, v77 :: v_dual_fmac_f32 v78, 0x3e9e377a, v70
	v_dual_fmac_f32 v81, 0x3e9e377a, v70 :: v_dual_sub_f32 v70, v55, v77
	v_dual_add_f32 v71, v60, v75 :: v_dual_fmac_f32 v82, 0xbf167918, v73
	v_fmamk_f32 v60, v70, 0x3f737871, v62
	v_fmac_f32_e32 v62, 0xbf737871, v70
	s_delay_alu instid0(VALU_DEP_3) | instskip(SKIP_1) | instid1(VALU_DEP_1)
	v_fmac_f32_e32 v82, 0x3e9e377a, v59
	v_sub_f32_e32 v59, v56, v63
	v_fmac_f32_e32 v60, 0x3f167918, v59
	s_delay_alu instid0(VALU_DEP_4) | instskip(SKIP_2) | instid1(VALU_DEP_4)
	v_fmac_f32_e32 v62, 0xbf167918, v59
	v_fmamk_f32 v73, v59, 0xbf737871, v54
	v_fmac_f32_e32 v54, 0x3f737871, v59
	v_dual_add_f32 v59, v56, v63 :: v_dual_fmac_f32 v60, 0x3e9e377a, v61
	s_delay_alu instid0(VALU_DEP_4)
	v_fmac_f32_e32 v62, 0x3e9e377a, v61
	v_add_f32_e32 v61, v55, v77
	v_fmac_f32_e32 v73, 0x3f167918, v70
	v_fmac_f32_e32 v54, 0xbf167918, v70
	v_fma_f32 v70, -0.5, v59, v53
	v_add_f32_e32 v59, v53, v55
	v_fmac_f32_e32 v53, -0.5, v61
	v_sub_f32_e32 v55, v56, v55
	v_fmac_f32_e32 v73, 0x3e9e377a, v72
	v_fmamk_f32 v61, v57, 0xbf737871, v70
	v_fmac_f32_e32 v54, 0x3e9e377a, v72
	v_dual_fmamk_f32 v75, v58, 0x3f737871, v53 :: v_dual_sub_f32 v72, v77, v63
	v_add_f32_e32 v55, v55, v83
	s_delay_alu instid0(VALU_DEP_4) | instskip(NEXT) | instid1(VALU_DEP_3)
	v_dual_fmac_f32 v61, 0xbf167918, v58 :: v_dual_add_f32 v56, v59, v56
	v_fmac_f32_e32 v75, 0xbf167918, v57
	s_delay_alu instid0(VALU_DEP_2) | instskip(NEXT) | instid1(VALU_DEP_2)
	v_dual_add_f32 v69, v69, v72 :: v_dual_add_f32 v56, v56, v63
	v_fmac_f32_e32 v75, 0x3e9e377a, v55
	s_delay_alu instid0(VALU_DEP_2) | instskip(NEXT) | instid1(VALU_DEP_2)
	v_fmac_f32_e32 v61, 0x3e9e377a, v69
	v_dual_add_f32 v77, v56, v77 :: v_dual_mul_f32 v72, 0x3f737871, v75
	s_delay_alu instid0(VALU_DEP_2) | instskip(SKIP_1) | instid1(VALU_DEP_3)
	v_mul_f32_e32 v63, 0x3f167918, v61
	v_mul_f32_e32 v56, 0x3f4f1bbd, v62
	v_fmac_f32_e32 v72, 0x3e9e377a, v73
	v_mul_f32_e32 v73, 0xbf737871, v73
	s_delay_alu instid0(VALU_DEP_2) | instskip(NEXT) | instid1(VALU_DEP_2)
	v_dual_fmac_f32 v70, 0x3f737871, v57 :: v_dual_add_f32 v59, v76, v72
	v_fmac_f32_e32 v73, 0x3e9e377a, v75
	v_fmac_f32_e32 v63, 0x3f4f1bbd, v60
	;; [unrolled: 1-line block ×3, first 2 shown]
	s_delay_alu instid0(VALU_DEP_3) | instskip(NEXT) | instid1(VALU_DEP_2)
	v_dual_mul_f32 v83, 0xbf167918, v60 :: v_dual_add_f32 v60, v82, v73
	v_fmac_f32_e32 v53, 0x3f167918, v57
	s_delay_alu instid0(VALU_DEP_2) | instskip(SKIP_1) | instid1(VALU_DEP_3)
	v_fmac_f32_e32 v83, 0x3f4f1bbd, v61
	v_dual_fmac_f32 v70, 0x3f167918, v58 :: v_dual_add_f32 v57, v74, v63
	v_fmac_f32_e32 v53, 0x3e9e377a, v55
	s_delay_alu instid0(VALU_DEP_2) | instskip(NEXT) | instid1(VALU_DEP_1)
	v_dual_mul_f32 v55, 0x3e9e377a, v54 :: v_dual_fmac_f32 v70, 0x3e9e377a, v69
	v_fma_f32 v69, 0x3f737871, v53, -v55
	s_delay_alu instid0(VALU_DEP_2)
	v_fma_f32 v84, 0x3f167918, v70, -v56
	v_mul_f32_e32 v58, 0x3f4f1bbd, v70
	v_sub_f32_e32 v70, v74, v63
	v_and_b32_e32 v63, 0xffff, v51
	v_mul_f32_e32 v56, 0x3e9e377a, v53
	v_add_f32_e32 v53, v0, v69
	v_sub_f32_e32 v51, v76, v72
	v_sub_f32_e32 v72, v0, v69
	v_mul_u32_u24_e32 v0, 0x320, v63
	v_lshlrev_b32_e32 v63, 3, v52
	v_sub_f32_e32 v69, v80, v77
	v_fma_f32 v75, 0xbf737871, v54, -v56
	v_dual_sub_f32 v52, v82, v73 :: v_dual_add_f32 v61, v79, v84
	s_delay_alu instid0(VALU_DEP_4) | instskip(SKIP_1) | instid1(VALU_DEP_4)
	v_add3_u32 v0, 0, v0, v63
	v_fma_f32 v85, 0xbf167918, v62, -v58
	v_add_f32_e32 v54, v1, v75
	v_sub_f32_e32 v73, v1, v75
	v_mul_u32_u24_e32 v1, 0x320, v50
	ds_store_2addr_b64 v0, v[64:65], v[66:67] offset1:10
	ds_store_2addr_b64 v0, v[2:3], v[4:5] offset0:20 offset1:30
	ds_store_2addr_b64 v0, v[6:7], v[8:9] offset0:40 offset1:50
	v_lshrrev_b16 v6, 2, v36
	v_add_f32_e32 v55, v68, v71
	v_sub_f32_e32 v68, v68, v71
	v_sub_f32_e32 v71, v78, v83
	v_add3_u32 v5, 0, v1, v49
	v_and_b32_e32 v6, 0xffff, v6
	v_dual_add_f32 v56, v80, v77 :: v_dual_add_nc_u32 v63, 0xffffff9c, v16
	v_add_f32_e32 v58, v78, v83
	v_add_f32_e32 v62, v81, v85
	v_dual_sub_f32 v74, v79, v84 :: v_dual_sub_f32 v75, v81, v85
	ds_store_2addr_b64 v0, v[10:11], v[12:13] offset0:60 offset1:70
	ds_store_2addr_b64 v0, v[14:15], v[38:39] offset0:80 offset1:90
	ds_store_2addr_b64 v5, v[55:56], v[57:58] offset1:10
	ds_store_2addr_b64 v5, v[59:60], v[53:54] offset0:20 offset1:30
	ds_store_2addr_b64 v5, v[61:62], v[68:69] offset0:40 offset1:50
	;; [unrolled: 1-line block ×4, first 2 shown]
	v_mul_u32_u24_e32 v5, 0x147b, v6
	v_lshrrev_b16 v50, 2, v32
	s_wait_alu 0xf1ff
	v_cndmask_b32_e64 v91, v63, v16, s0
	v_mov_b32_e32 v1, 0
	v_lshrrev_b16 v6, 2, v34
	v_lshrrev_b32_e32 v5, 17, v5
	v_and_b32_e32 v2, 0xffff, v50
	v_mul_i32_i24_e32 v0, 3, v91
	v_lshrrev_b16 v7, 2, v20
	v_and_b32_e32 v6, 0xffff, v6
	v_mul_lo_u16 v10, 0x64, v5
	v_mul_u32_u24_e32 v2, 0x147b, v2
	global_wb scope:SCOPE_SE
	s_wait_dscnt 0x0
	s_barrier_signal -1
	v_mul_u32_u24_e32 v6, 0x147b, v6
	v_sub_nc_u16 v10, v36, v10
	v_lshrrev_b32_e32 v4, 17, v2
	v_lshlrev_b64_e32 v[2:3], 3, v[0:1]
	s_barrier_wait -1
	global_inv scope:SCOPE_SE
	v_and_b32_e32 v93, 0xffff, v10
	v_mul_lo_u16 v0, 0x64, v4
	v_and_b32_e32 v12, 0xffff, v7
	v_add_co_u32 v2, s0, s4, v2
	s_delay_alu instid0(VALU_DEP_4) | instskip(NEXT) | instid1(VALU_DEP_4)
	v_mul_u32_u24_e32 v15, 3, v93
	v_sub_nc_u16 v0, v32, v0
	s_wait_alu 0xf1ff
	v_add_co_ci_u32_e64 v3, s0, s5, v3, s0
	v_lshrrev_b32_e32 v92, 17, v6
	v_lshlrev_b32_e32 v49, 3, v15
	v_mul_u32_u24_e32 v12, 0x147b, v12
	global_load_b128 v[6:9], v[2:3], off offset:720
	v_cmp_lt_u32_e64 s0, 0x63, v16
	v_mul_lo_u16 v14, 0x64, v92
	global_load_b128 v[53:56], v49, s[4:5] offset:720
	v_and_b32_e32 v0, 0xffff, v0
	v_lshrrev_b32_e32 v94, 17, v12
	v_mul_u32_u24_e32 v4, 0xc80, v4
	v_sub_nc_u16 v14, v34, v14
	v_mul_u32_u24_e32 v5, 0xc80, v5
	v_mul_u32_u24_e32 v11, 3, v0
	v_mul_lo_u16 v39, 0x64, v94
	s_delay_alu instid0(VALU_DEP_4) | instskip(NEXT) | instid1(VALU_DEP_3)
	v_and_b32_e32 v95, 0xffff, v14
	v_lshlrev_b32_e32 v38, 3, v11
	s_delay_alu instid0(VALU_DEP_3) | instskip(NEXT) | instid1(VALU_DEP_3)
	v_sub_nc_u16 v14, v20, v39
	v_mul_u32_u24_e32 v15, 3, v95
	global_load_b128 v[10:13], v38, s[4:5] offset:720
	v_and_b32_e32 v96, 0xffff, v14
	v_lshlrev_b32_e32 v39, 3, v15
	s_delay_alu instid0(VALU_DEP_2)
	v_mul_u32_u24_e32 v14, 3, v96
	global_load_b128 v[57:60], v39, s[4:5] offset:720
	v_lshlrev_b32_e32 v50, 3, v14
	s_clause 0x5
	global_load_b128 v[61:64], v50, s[4:5] offset:720
	global_load_b64 v[14:15], v[2:3], off offset:736
	global_load_b64 v[77:78], v50, s[4:5] offset:736
	global_load_b64 v[79:80], v39, s[4:5] offset:736
	;; [unrolled: 1-line block ×4, first 2 shown]
	v_lshl_add_u32 v38, v30, 3, 0
	v_add_nc_u32_e32 v3, 0x2c00, v40
	v_add_nc_u32_e32 v49, 0x4000, v40
	ds_load_b64 v[50:51], v38
	ds_load_2addr_b64 v[65:68], v3 offset0:32 offset1:192
	v_add_nc_u32_e32 v2, 0x2200, v40
	ds_load_2addr_b64 v[69:72], v49 offset0:32 offset1:192
	ds_load_b64 v[85:86], v45
	ds_load_2addr_b64 v[73:76], v2 offset0:32 offset1:192
	ds_load_b64 v[87:88], v40 offset:24320
	ds_load_b64 v[89:90], v47
	s_wait_loadcnt_dscnt 0x906
	v_dual_mul_f32 v39, v7, v51 :: v_dual_add_nc_u32 v52, 0x4a00, v40
	v_mul_f32_e32 v97, v7, v50
	s_wait_dscnt 0x5
	v_mul_f32_e32 v7, v9, v68
	s_wait_loadcnt_dscnt 0x802
	v_dual_mul_f32 v103, v75, v54 :: v_dual_lshlrev_b32 v0, 3, v0
	v_fma_f32 v39, v6, v50, -v39
	v_fmac_f32_e32 v97, v6, v51
	v_mul_f32_e32 v50, v70, v56
	v_add_nc_u32_e32 v51, 0x3600, v40
	v_fma_f32 v99, v8, v67, -v7
	v_fmac_f32_e32 v103, v76, v53
	v_add3_u32 v4, 0, v4, v0
	v_mul_i32_i24_e32 v0, 3, v20
	s_wait_loadcnt 0x7
	v_mul_f32_e32 v6, v66, v11
	v_dual_mul_f32 v100, v65, v11 :: v_dual_mul_f32 v11, v72, v13
	v_mul_f32_e32 v102, v71, v13
	s_delay_alu instid0(VALU_DEP_3) | instskip(NEXT) | instid1(VALU_DEP_3)
	v_fma_f32 v101, v65, v10, -v6
	v_fmac_f32_e32 v100, v66, v10
	s_delay_alu instid0(VALU_DEP_4) | instskip(NEXT) | instid1(VALU_DEP_4)
	v_fma_f32 v71, v71, v12, -v11
	v_fmac_f32_e32 v102, v72, v12
	v_mul_f32_e32 v72, v69, v56
	v_mul_f32_e32 v56, v76, v54
	ds_load_2addr_b64 v[10:13], v52 offset0:32 offset1:192
	v_mul_f32_e32 v98, v9, v67
	v_fma_f32 v69, v69, v55, -v50
	v_add_nc_u32_e32 v50, 0x5400, v40
	v_fmac_f32_e32 v72, v70, v55
	v_fma_f32 v70, v75, v53, -v56
	s_wait_loadcnt 0x6
	v_mul_f32_e32 v65, v74, v58
	v_mul_f32_e32 v58, v73, v58
	ds_load_2addr_b64 v[53:56], v50 offset0:32 offset1:192
	v_fmac_f32_e32 v98, v8, v68
	ds_load_2addr_b64 v[6:9], v51 offset0:32 offset1:192
	v_fma_f32 v73, v73, v57, -v65
	ds_load_2addr_stride64_b64 v[65:68], v40 offset1:15
	s_wait_dscnt 0x1
	v_dual_fmac_f32 v58, v74, v57 :: v_dual_mul_f32 v75, v9, v60
	v_mul_f32_e32 v60, v8, v60
	s_wait_loadcnt 0x5
	v_mul_f32_e32 v76, v7, v64
	v_mul_f32_e32 v57, v6, v64
	v_fma_f32 v64, v8, v59, -v75
	v_fmac_f32_e32 v60, v9, v59
	s_delay_alu instid0(VALU_DEP_4)
	v_fma_f32 v59, v6, v63, -v76
	s_wait_loadcnt 0x3
	v_mul_f32_e32 v9, v13, v78
	v_fmac_f32_e32 v57, v7, v63
	v_mul_f32_e32 v63, v12, v78
	s_wait_loadcnt 0x2
	v_mul_f32_e32 v7, v54, v80
	v_mul_f32_e32 v75, v53, v80
	v_fma_f32 v74, v12, v77, -v9
	s_wait_loadcnt 0x1
	v_mul_f32_e32 v9, v56, v82
	v_dual_fmac_f32 v63, v13, v77 :: v_dual_mul_f32 v76, v55, v82
	v_fma_f32 v77, v53, v79, -v7
	s_wait_dscnt 0x0
	v_dual_mul_f32 v7, v62, v68 :: v_dual_mul_f32 v6, v15, v11
	v_dual_mul_f32 v8, v15, v10 :: v_dual_fmac_f32 v75, v54, v79
	v_fma_f32 v78, v55, v81, -v9
	v_dual_fmac_f32 v76, v56, v81 :: v_dual_mul_f32 v55, v62, v67
	s_delay_alu instid0(VALU_DEP_4)
	v_fma_f32 v56, v61, v67, -v7
	v_fma_f32 v6, v14, v10, -v6
	v_sub_f32_e32 v67, v73, v77
	v_sub_f32_e32 v15, v66, v98
	v_fmac_f32_e32 v55, v61, v68
	v_dual_sub_f32 v61, v56, v74 :: v_dual_sub_f32 v68, v58, v75
	v_fmac_f32_e32 v8, v14, v11
	v_dual_sub_f32 v14, v65, v99 :: v_dual_sub_f32 v11, v39, v6
	v_fma_f32 v13, v66, 2.0, -v15
	s_wait_loadcnt 0x0
	v_mul_f32_e32 v9, v88, v84
	s_wait_alu 0xf1ff
	v_cndmask_b32_e64 v53, 0, 0xc80, s0
	v_fma_f32 v12, v65, 2.0, -v14
	v_dual_mul_f32 v65, v87, v84 :: v_dual_lshlrev_b32 v54, 3, v91
	v_fma_f32 v66, v87, v83, -v9
	ds_load_b64 v[6:7], v48
	v_sub_f32_e32 v77, v85, v71
	v_dual_fmac_f32 v65, v88, v83 :: v_dual_sub_f32 v10, v97, v8
	v_fma_f32 v8, v39, 2.0, -v11
	v_add3_u32 v79, 0, v53, v54
	v_add_f32_e32 v11, v15, v11
	s_delay_alu instid0(VALU_DEP_4) | instskip(SKIP_2) | instid1(VALU_DEP_4)
	v_sub_f32_e32 v75, v100, v65
	v_fma_f32 v39, v97, 2.0, -v10
	v_dual_sub_f32 v10, v14, v10 :: v_dual_lshlrev_b32 v83, 3, v95
	v_fma_f32 v15, v15, 2.0, -v11
	s_delay_alu instid0(VALU_DEP_4) | instskip(NEXT) | instid1(VALU_DEP_4)
	v_fma_f32 v81, v100, 2.0, -v75
	v_sub_f32_e32 v9, v13, v39
	v_lshl_add_u32 v39, v36, 3, 0
	v_fma_f32 v14, v14, 2.0, -v10
	v_cmp_gt_u32_e64 s0, 0x50, v16
	v_mul_u32_u24_e32 v82, 0xc80, v92
	v_fma_f32 v13, v13, 2.0, -v9
	ds_load_b64 v[53:54], v39
	v_sub_f32_e32 v8, v12, v8
	global_wb scope:SCOPE_SE
	s_wait_dscnt 0x0
	s_barrier_signal -1
	s_barrier_wait -1
	global_inv scope:SCOPE_SE
	v_fma_f32 v12, v12, 2.0, -v8
	v_sub_f32_e32 v59, v6, v59
	ds_store_2addr_b64 v79, v[12:13], v[14:15] offset1:100
	v_fma_f32 v14, v73, 2.0, -v67
	v_dual_sub_f32 v12, v55, v63 :: v_dual_sub_f32 v63, v89, v64
	v_fma_f32 v15, v58, 2.0, -v68
	v_add_nc_u32_e32 v79, 0x400, v79
	v_sub_f32_e32 v73, v53, v69
	v_sub_f32_e32 v62, v7, v57
	v_fma_f32 v57, v6, 2.0, -v59
	v_fma_f32 v6, v56, 2.0, -v61
	v_sub_f32_e32 v72, v54, v72
	v_fma_f32 v69, v53, 2.0, -v73
	v_add_f32_e32 v13, v62, v61
	v_sub_f32_e32 v64, v90, v60
	v_sub_f32_e32 v61, v63, v68
	v_fma_f32 v60, v89, 2.0, -v63
	v_sub_f32_e32 v6, v57, v6
	ds_store_2addr_b64 v79, v[8:9], v[10:11] offset0:72 offset1:172
	v_fma_f32 v74, v90, 2.0, -v64
	v_lshlrev_b32_e32 v8, 3, v93
	v_sub_f32_e32 v14, v60, v14
	v_add3_u32 v9, 0, v82, v83
	v_fma_f32 v63, v63, 2.0, -v61
	v_dual_sub_f32 v15, v74, v15 :: v_dual_sub_f32 v68, v103, v76
	v_fma_f32 v76, v85, 2.0, -v77
	v_add3_u32 v5, 0, v5, v8
	s_delay_alu instid0(VALU_DEP_3) | instskip(SKIP_4) | instid1(VALU_DEP_2)
	v_dual_sub_f32 v65, v73, v68 :: v_dual_add_nc_u32 v8, 0x400, v9
	v_fma_f32 v56, v7, 2.0, -v62
	v_fma_f32 v58, v62, 2.0, -v13
	v_dual_add_f32 v62, v64, v67 :: v_dual_sub_f32 v67, v70, v78
	v_sub_f32_e32 v78, v86, v102
	v_fma_f32 v53, v70, 2.0, -v67
	s_delay_alu instid0(VALU_DEP_2) | instskip(SKIP_2) | instid1(VALU_DEP_4)
	v_fma_f32 v80, v86, 2.0, -v78
	v_fma_f32 v70, v54, 2.0, -v72
	;; [unrolled: 1-line block ×3, first 2 shown]
	v_sub_f32_e32 v53, v69, v53
	s_delay_alu instid0(VALU_DEP_4)
	v_dual_sub_f32 v68, v80, v81 :: v_dual_lshlrev_b32 v81, 3, v96
	v_fma_f32 v7, v55, 2.0, -v12
	v_sub_f32_e32 v12, v59, v12
	v_fma_f32 v55, v57, 2.0, -v6
	v_sub_f32_e32 v54, v70, v54
	;; [unrolled: 2-line block ×3, first 2 shown]
	v_fma_f32 v57, v59, 2.0, -v12
	v_fma_f32 v59, v60, 2.0, -v14
	;; [unrolled: 1-line block ×3, first 2 shown]
	v_sub_f32_e32 v74, v101, v66
	v_add_f32_e32 v66, v72, v67
	v_fma_f32 v56, v56, 2.0, -v7
	v_fma_f32 v70, v70, 2.0, -v54
	s_delay_alu instid0(VALU_DEP_4) | instskip(NEXT) | instid1(VALU_DEP_4)
	v_fma_f32 v71, v101, 2.0, -v74
	v_fma_f32 v72, v72, 2.0, -v66
	s_delay_alu instid0(VALU_DEP_2) | instskip(SKIP_3) | instid1(VALU_DEP_4)
	v_dual_add_f32 v74, v78, v74 :: v_dual_sub_f32 v67, v76, v71
	v_fma_f32 v71, v73, 2.0, -v65
	v_sub_f32_e32 v73, v77, v75
	v_fma_f32 v64, v64, 2.0, -v62
	v_fma_f32 v78, v78, 2.0, -v74
	v_fma_f32 v75, v76, 2.0, -v67
	v_fma_f32 v76, v80, 2.0, -v68
	v_mul_u32_u24_e32 v80, 0xc80, v94
	v_fma_f32 v77, v77, 2.0, -v73
	s_delay_alu instid0(VALU_DEP_2) | instskip(NEXT) | instid1(VALU_DEP_1)
	v_add3_u32 v80, 0, v80, v81
	v_add_nc_u32_e32 v10, 0x400, v80
	ds_store_2addr_b64 v80, v[55:56], v[57:58] offset1:100
	v_lshlrev_b64_e32 v[57:58], 3, v[0:1]
	ds_store_2addr_b64 v10, v[6:7], v[12:13] offset0:72 offset1:172
	v_add_nc_u32_e32 v7, 0xffffffb0, v16
	v_add_nc_u32_e32 v6, 0x400, v5
	ds_store_2addr_b64 v9, v[59:60], v[63:64] offset1:100
	ds_store_2addr_b64 v8, v[14:15], v[61:62] offset0:72 offset1:172
	ds_store_2addr_b64 v5, v[69:70], v[71:72] offset1:100
	v_mul_u32_u24_e32 v5, 3, v16
	s_wait_alu 0xf1ff
	v_cndmask_b32_e64 v101, v7, v34, s0
	v_add_nc_u32_e32 v8, 0x400, v4
	ds_store_2addr_b64 v6, v[53:54], v[65:66] offset0:72 offset1:172
	ds_store_2addr_b64 v4, v[75:76], v[77:78] offset1:100
	v_lshlrev_b32_e32 v63, 3, v5
	v_mul_i32_i24_e32 v0, 3, v101
	ds_store_2addr_b64 v8, v[67:68], v[73:74] offset0:72 offset1:172
	global_wb scope:SCOPE_SE
	s_wait_dscnt 0x0
	s_barrier_signal -1
	s_barrier_wait -1
	v_lshlrev_b64_e32 v[0:1], 3, v[0:1]
	global_inv scope:SCOPE_SE
	s_clause 0x1
	global_load_b128 v[4:7], v63, s[4:5] offset:3120
	global_load_b128 v[8:11], v63, s[4:5] offset:8880
	v_add_co_u32 v0, s0, s4, v0
	s_wait_alu 0xf1ff
	v_add_co_ci_u32_e64 v1, s0, s5, v1, s0
	s_clause 0x1
	global_load_b128 v[12:15], v63, s[4:5] offset:5040
	global_load_b128 v[53:56], v[0:1], off offset:3120
	v_add_co_u32 v61, s0, s4, v57
	s_wait_alu 0xf1ff
	v_add_co_ci_u32_e64 v62, s0, s5, v58, s0
	s_clause 0x5
	global_load_b128 v[57:60], v[61:62], off offset:3120
	global_load_b64 v[85:86], v63, s[4:5] offset:3136
	global_load_b64 v[87:88], v[61:62], off offset:3136
	global_load_b64 v[89:90], v[0:1], off offset:3136
	global_load_b64 v[91:92], v63, s[4:5] offset:5056
	global_load_b64 v[93:94], v63, s[4:5] offset:8896
	ds_load_b64 v[95:96], v38
	ds_load_2addr_b64 v[61:64], v3 offset0:32 offset1:192
	ds_load_2addr_b64 v[65:68], v49 offset0:32 offset1:192
	;; [unrolled: 1-line block ×4, first 2 shown]
	ds_load_2addr_stride64_b64 v[73:76], v40 offset1:15
	ds_load_2addr_b64 v[77:80], v52 offset0:32 offset1:192
	ds_load_2addr_b64 v[81:84], v50 offset0:32 offset1:192
	ds_load_b64 v[97:98], v40 offset:24320
	ds_load_b64 v[99:100], v45
	v_cmp_lt_u32_e64 s0, 0x4f, v16
	s_wait_loadcnt_dscnt 0x808
	v_dual_mul_f32 v103, v5, v95 :: v_dual_mul_f32 v104, v62, v9
	v_mul_f32_e32 v105, v61, v9
	s_wait_dscnt 0x7
	v_mul_f32_e32 v9, v68, v11
	s_delay_alu instid0(VALU_DEP_3) | instskip(NEXT) | instid1(VALU_DEP_3)
	v_dual_mul_f32 v106, v67, v11 :: v_dual_fmac_f32 v103, v4, v96
	v_fmac_f32_e32 v105, v62, v8
	s_delay_alu instid0(VALU_DEP_3)
	v_fma_f32 v67, v67, v10, -v9
	s_wait_loadcnt_dscnt 0x706
	v_mul_f32_e32 v11, v3, v13
	v_mul_f32_e32 v107, v66, v15
	v_dual_mul_f32 v108, v65, v15 :: v_dual_mul_f32 v109, v2, v13
	s_wait_loadcnt 0x6
	v_mul_f32_e32 v13, v1, v54
	v_mul_f32_e32 v110, v0, v54
	s_wait_dscnt 0x5
	v_mul_f32_e32 v15, v72, v56
	v_mul_f32_e32 v54, v71, v56
	v_dual_fmac_f32 v108, v66, v14 :: v_dual_fmac_f32 v109, v3, v12
	v_fma_f32 v66, v0, v53, -v13
	v_fmac_f32_e32 v110, v1, v53
	v_fma_f32 v53, v71, v55, -v15
	s_wait_loadcnt_dscnt 0x202
	v_dual_fmac_f32 v54, v72, v55 :: v_dual_mul_f32 v55, v81, v90
	v_mul_f32_e32 v102, v5, v96
	v_mul_f32_e32 v5, v7, v64
	;; [unrolled: 1-line block ×3, first 2 shown]
	v_fma_f32 v62, v65, v14, -v107
	v_fmac_f32_e32 v55, v82, v89
	v_fma_f32 v56, v4, v95, -v102
	v_fma_f32 v63, v6, v63, -v5
	v_fmac_f32_e32 v7, v6, v64
	v_mul_f32_e32 v64, v86, v77
	v_fma_f32 v65, v2, v12, -v11
	ds_load_b64 v[0:1], v48
	v_sub_f32_e32 v12, v73, v63
	v_sub_f32_e32 v14, v74, v7
	v_fmac_f32_e32 v64, v85, v78
	v_mul_f32_e32 v6, v86, v78
	v_mul_f32_e32 v5, v58, v76
	;; [unrolled: 1-line block ×3, first 2 shown]
	v_fma_f32 v86, v61, v8, -v104
	v_sub_f32_e32 v63, v103, v64
	v_fma_f32 v6, v85, v77, -v6
	v_mul_f32_e32 v4, v70, v60
	s_wait_loadcnt_dscnt 0x2
	v_dual_mul_f32 v60, v69, v60 :: v_dual_mul_f32 v11, v98, v94
	v_mul_f32_e32 v61, v79, v88
	v_sub_f32_e32 v13, v56, v6
	v_fma_f32 v9, v69, v59, -v4
	v_dual_mul_f32 v69, v97, v94 :: v_dual_mul_f32 v8, v80, v88
	v_fma_f32 v7, v103, 2.0, -v63
	s_delay_alu instid0(VALU_DEP_4) | instskip(SKIP_1) | instid1(VALU_DEP_4)
	v_fma_f32 v6, v56, 2.0, -v13
	v_fma_f32 v56, v74, 2.0, -v14
	v_fmac_f32_e32 v69, v98, v93
	v_fma_f32 v8, v79, v87, -v8
	v_fmac_f32_e32 v106, v68, v10
	v_fma_f32 v10, v57, v75, -v5
	v_dual_fmac_f32 v61, v80, v87 :: v_dual_mul_f32 v2, v82, v90
	v_sub_f32_e32 v7, v56, v7
	v_dual_fmac_f32 v60, v70, v59 :: v_dual_mul_f32 v59, v83, v92
	v_fmac_f32_e32 v58, v57, v76
	s_delay_alu instid0(VALU_DEP_4)
	v_fma_f32 v57, v81, v89, -v2
	ds_load_b64 v[2:3], v47
	v_sub_f32_e32 v71, v10, v8
	s_wait_dscnt 0x2
	v_sub_f32_e32 v77, v100, v106
	s_wait_dscnt 0x1
	v_sub_f32_e32 v70, v0, v9
	v_add_f32_e32 v9, v14, v13
	v_dual_sub_f32 v61, v58, v61 :: v_dual_mul_f32 v4, v84, v92
	v_fmac_f32_e32 v59, v84, v91
	v_sub_f32_e32 v8, v12, v63
	v_fma_f32 v64, v97, v93, -v11
	s_delay_alu instid0(VALU_DEP_4)
	v_fma_f32 v11, v58, 2.0, -v61
	v_fma_f32 v68, v83, v91, -v4
	ds_load_b64 v[4:5], v39
	v_sub_f32_e32 v74, v109, v59
	v_sub_f32_e32 v76, v99, v67
	;; [unrolled: 1-line block ×4, first 2 shown]
	v_fma_f32 v78, v100, 2.0, -v77
	global_wb scope:SCOPE_SE
	s_wait_dscnt 0x0
	s_barrier_signal -1
	v_sub_f32_e32 v63, v2, v53
	v_sub_f32_e32 v53, v70, v61
	;; [unrolled: 1-line block ×3, first 2 shown]
	v_fma_f32 v72, v0, 2.0, -v70
	v_fma_f32 v55, v66, 2.0, -v58
	;; [unrolled: 1-line block ×4, first 2 shown]
	v_sub_f32_e32 v59, v63, v61
	v_fma_f32 v15, v73, 2.0, -v12
	s_barrier_wait -1
	v_sub_f32_e32 v55, v57, v55
	global_inv scope:SCOPE_SE
	v_sub_f32_e32 v70, v4, v62
	v_sub_f32_e32 v60, v1, v60
	;; [unrolled: 1-line block ×3, first 2 shown]
	v_fma_f32 v57, v57, 2.0, -v55
	s_delay_alu instid0(VALU_DEP_3) | instskip(SKIP_1) | instid1(VALU_DEP_4)
	v_fma_f32 v73, v1, 2.0, -v60
	v_fma_f32 v1, v10, 2.0, -v71
	;; [unrolled: 1-line block ×3, first 2 shown]
	s_delay_alu instid0(VALU_DEP_2) | instskip(SKIP_3) | instid1(VALU_DEP_4)
	v_dual_sub_f32 v11, v73, v11 :: v_dual_sub_f32 v10, v72, v1
	v_fma_f32 v1, v56, 2.0, -v7
	v_fma_f32 v56, v110, 2.0, -v61
	;; [unrolled: 1-line block ×4, first 2 shown]
	v_sub_f32_e32 v73, v5, v108
	s_delay_alu instid0(VALU_DEP_1) | instskip(SKIP_1) | instid1(VALU_DEP_1)
	v_fma_f32 v75, v5, 2.0, -v73
	v_fma_f32 v5, v109, 2.0, -v74
	v_sub_f32_e32 v5, v75, v5
	v_fma_f32 v13, v14, 2.0, -v9
	v_fma_f32 v14, v72, 2.0, -v10
	v_sub_f32_e32 v72, v3, v54
	v_add_f32_e32 v54, v60, v71
	v_fma_f32 v71, v4, 2.0, -v70
	v_fma_f32 v4, v65, 2.0, -v68
	v_sub_f32_e32 v65, v70, v74
	v_fma_f32 v66, v3, 2.0, -v72
	v_fma_f32 v3, v60, 2.0, -v54
	;; [unrolled: 1-line block ×3, first 2 shown]
	v_sub_f32_e32 v4, v71, v4
	v_fma_f32 v67, v70, 2.0, -v65
	v_sub_f32_e32 v56, v66, v56
	s_delay_alu instid0(VALU_DEP_3)
	v_fma_f32 v63, v71, 2.0, -v4
	v_sub_f32_e32 v71, v105, v69
	v_fma_f32 v12, v12, 2.0, -v8
	ds_store_b64 v40, v[0:1]
	ds_store_b64 v40, v[12:13] offset:3200
	ds_store_b64 v40, v[6:7] offset:6400
	;; [unrolled: 1-line block ×3, first 2 shown]
	v_fma_f32 v79, v105, 2.0, -v71
	v_sub_f32_e32 v71, v76, v71
	v_add_f32_e32 v60, v72, v58
	v_fma_f32 v58, v66, 2.0, -v56
	v_add_f32_e32 v66, v73, v68
	v_dual_sub_f32 v70, v78, v79 :: v_dual_add_nc_u32 v1, 0x3400, v40
	s_delay_alu instid0(VALU_DEP_4)
	v_fma_f32 v62, v72, 2.0, -v60
	v_sub_f32_e32 v72, v86, v64
	v_fma_f32 v64, v75, 2.0, -v5
	v_fma_f32 v68, v73, 2.0, -v66
	;; [unrolled: 1-line block ×3, first 2 shown]
	ds_store_b64 v48, v[14:15]
	ds_store_b64 v48, v[2:3] offset:3200
	ds_store_b64 v48, v[10:11] offset:6400
	ds_store_b64 v48, v[53:54] offset:9600
	v_fma_f32 v69, v86, 2.0, -v72
	v_add_f32_e32 v72, v77, v72
	s_delay_alu instid0(VALU_DEP_2) | instskip(NEXT) | instid1(VALU_DEP_2)
	v_dual_sub_f32 v69, v74, v69 :: v_dual_add_nc_u32 v2, 0x4c00, v40
	v_fma_f32 v76, v77, 2.0, -v72
	s_wait_alu 0xf1ff
	v_cndmask_b32_e64 v77, 0, 0x3200, s0
	s_delay_alu instid0(VALU_DEP_3) | instskip(SKIP_2) | instid1(VALU_DEP_1)
	v_fma_f32 v73, v74, 2.0, -v69
	v_fma_f32 v74, v78, 2.0, -v70
	v_lshlrev_b32_e32 v78, 3, v101
	v_add3_u32 v0, 0, v77, v78
	ds_store_b64 v0, v[57:58]
	ds_store_b64 v0, v[61:62] offset:3200
	ds_store_b64 v0, v[55:56] offset:6400
	;; [unrolled: 1-line block ×3, first 2 shown]
	ds_store_2addr_b64 v1, v[63:64], v[73:74] offset0:16 offset1:176
	ds_store_2addr_b64 v49, v[67:68], v[75:76] offset0:32 offset1:192
	;; [unrolled: 1-line block ×4, first 2 shown]
	v_lshlrev_b64_e32 v[0:1], 3, v[20:21]
	v_lshlrev_b64_e32 v[2:3], 3, v[34:35]
	global_wb scope:SCOPE_SE
	s_wait_dscnt 0x0
	s_barrier_signal -1
	s_barrier_wait -1
	global_inv scope:SCOPE_SE
	v_add_co_u32 v34, s0, s4, v0
	s_wait_alu 0xf1ff
	v_add_co_ci_u32_e64 v35, s0, s5, v1, s0
	v_lshlrev_b64_e32 v[0:1], 3, v[36:37]
	v_add_co_u32 v14, s0, s4, v2
	s_wait_alu 0xf1ff
	v_add_co_ci_u32_e64 v15, s0, s5, v3, s0
	v_lshlrev_b64_e32 v[2:3], 3, v[32:33]
	s_delay_alu instid0(VALU_DEP_4) | instskip(SKIP_3) | instid1(VALU_DEP_4)
	v_add_co_u32 v12, s0, s4, v0
	s_wait_alu 0xf1ff
	v_add_co_ci_u32_e64 v13, s0, s5, v1, s0
	v_lshlrev_b64_e32 v[0:1], 3, v[30:31]
	v_add_co_u32 v8, s0, s4, v2
	s_wait_alu 0xf1ff
	v_add_co_ci_u32_e64 v9, s0, s5, v3, s0
	v_lshlrev_b64_e32 v[2:3], 3, v[28:29]
	s_delay_alu instid0(VALU_DEP_4) | instskip(SKIP_3) | instid1(VALU_DEP_4)
	v_add_co_u32 v10, s0, s4, v0
	s_wait_alu 0xf1ff
	v_add_co_ci_u32_e64 v11, s0, s5, v1, s0
	v_lshlrev_b64_e32 v[0:1], 3, v[22:23]
	v_add_co_u32 v6, s0, s4, v2
	s_wait_alu 0xf1ff
	v_add_co_ci_u32_e64 v7, s0, s5, v3, s0
	v_lshlrev_b64_e32 v[2:3], 3, v[26:27]
	s_delay_alu instid0(VALU_DEP_4) | instskip(SKIP_3) | instid1(VALU_DEP_4)
	v_add_co_u32 v4, s0, s4, v0
	s_wait_alu 0xf1ff
	v_add_co_ci_u32_e64 v5, s0, s5, v1, s0
	v_lshlrev_b64_e32 v[0:1], 3, v[16:17]
	v_add_co_u32 v2, s0, s4, v2
	v_lshlrev_b64_e32 v[27:28], 3, v[24:25]
	s_wait_alu 0xf1ff
	v_add_co_ci_u32_e64 v3, s0, s5, v3, s0
	s_delay_alu instid0(VALU_DEP_4)
	v_add_co_u32 v25, s0, s4, v0
	s_wait_alu 0xf1ff
	v_add_co_ci_u32_e64 v26, s0, s5, v1, s0
	v_add_co_u32 v0, s0, s4, v27
	s_wait_alu 0xf1ff
	v_add_co_ci_u32_e64 v1, s0, s5, v28, s0
	s_clause 0x9
	global_load_b64 v[32:33], v[34:35], off offset:12720
	global_load_b64 v[36:37], v[14:15], off offset:12720
	;; [unrolled: 1-line block ×10, first 2 shown]
	v_lshl_add_u32 v27, v22, 3, 0
	ds_load_2addr_b64 v[28:31], v51 offset0:32 offset1:192
	v_lshl_add_u32 v17, v24, 3, 0
	ds_load_2addr_b64 v[21:24], v49 offset0:32 offset1:192
	ds_load_2addr_stride64_b64 v[53:56], v40 offset1:25
	ds_load_b64 v[77:78], v48
	ds_load_2addr_b64 v[57:60], v52 offset0:32 offset1:192
	ds_load_b64 v[79:80], v44
	ds_load_2addr_b64 v[49:52], v50 offset0:32 offset1:192
	ds_load_b64 v[81:82], v40 offset:24320
	ds_load_b64 v[83:84], v27
	ds_load_b64 v[85:86], v39
	;; [unrolled: 1-line block ×7, first 2 shown]
	global_wb scope:SCOPE_SE
	s_wait_loadcnt_dscnt 0x0
	s_barrier_signal -1
	s_barrier_wait -1
	global_inv scope:SCOPE_SE
	v_cmp_ne_u32_e64 s0, 0, v16
	v_dual_mul_f32 v99, v24, v64 :: v_dual_mul_f32 v100, v58, v66
	v_dual_mul_f32 v66, v57, v66 :: v_dual_mul_f32 v103, v52, v72
	v_mul_f32_e32 v97, v37, v31
	v_mul_f32_e32 v37, v37, v30
	;; [unrolled: 1-line block ×3, first 2 shown]
	s_delay_alu instid0(VALU_DEP_4)
	v_fmac_f32_e32 v66, v58, v65
	v_fma_f32 v58, v51, v71, -v103
	v_mul_f32_e32 v64, v23, v64
	v_mul_f32_e32 v101, v60, v68
	;; [unrolled: 1-line block ×4, first 2 shown]
	v_fmac_f32_e32 v37, v36, v31
	v_fmac_f32_e32 v64, v24, v63
	v_mul_f32_e32 v42, v33, v29
	v_mul_f32_e32 v33, v33, v28
	;; [unrolled: 1-line block ×6, first 2 shown]
	v_fmac_f32_e32 v33, v32, v29
	v_fma_f32 v29, v36, v30, -v97
	v_fma_f32 v36, v57, v65, -v100
	;; [unrolled: 1-line block ×3, first 2 shown]
	v_mul_f32_e32 v98, v62, v22
	v_dual_sub_f32 v24, v78, v33 :: v_dual_sub_f32 v33, v92, v64
	v_fma_f32 v28, v32, v28, -v42
	s_delay_alu instid0(VALU_DEP_4)
	v_sub_f32_e32 v51, v83, v57
	v_fma_f32 v42, v59, v67, -v101
	v_mul_f32_e32 v62, v62, v21
	v_mul_f32_e32 v76, v81, v76
	v_fma_f32 v30, v61, v21, -v98
	v_fma_f32 v21, v73, v55, -v104
	v_dual_sub_f32 v49, v79, v42 :: v_dual_fmac_f32 v74, v73, v56
	v_fmac_f32_e32 v62, v61, v22
	v_fma_f32 v32, v23, v63, -v99
	v_fmac_f32_e32 v68, v60, v67
	v_fmac_f32_e32 v70, v50, v69
	;; [unrolled: 1-line block ×3, first 2 shown]
	v_fma_f32 v59, v81, v75, -v105
	v_dual_fmac_f32 v76, v82, v75 :: v_dual_sub_f32 v21, v53, v21
	v_dual_sub_f32 v22, v54, v74 :: v_dual_sub_f32 v23, v77, v28
	v_sub_f32_e32 v28, v93, v29
	v_dual_sub_f32 v29, v94, v37 :: v_dual_sub_f32 v30, v85, v30
	v_dual_sub_f32 v31, v86, v62 :: v_dual_sub_f32 v32, v91, v32
	;; [unrolled: 1-line block ×3, first 2 shown]
	v_sub_f32_e32 v50, v80, v68
	v_sub_f32_e32 v52, v84, v70
	v_dual_sub_f32 v55, v89, v58 :: v_dual_sub_f32 v56, v90, v72
	v_dual_sub_f32 v57, v95, v59 :: v_dual_sub_f32 v58, v96, v76
	v_fma_f32 v53, v53, 2.0, -v21
	v_fma_f32 v54, v54, 2.0, -v22
	;; [unrolled: 1-line block ×20, first 2 shown]
	ds_store_2addr_stride64_b64 v40, v[53:54], v[21:22] offset1:25
	ds_store_2addr_stride64_b64 v48, v[59:60], v[23:24] offset1:25
	ds_store_2addr_stride64_b64 v47, v[61:62], v[28:29] offset1:25
	ds_store_2addr_stride64_b64 v39, v[63:64], v[30:31] offset1:25
	ds_store_2addr_stride64_b64 v45, v[65:66], v[32:33] offset1:25
	ds_store_2addr_stride64_b64 v38, v[67:68], v[36:37] offset1:25
	ds_store_2addr_stride64_b64 v44, v[69:70], v[49:50] offset1:25
	ds_store_2addr_stride64_b64 v27, v[71:72], v[51:52] offset1:25
	ds_store_2addr_stride64_b64 v43, v[73:74], v[55:56] offset1:25
	ds_store_2addr_stride64_b64 v17, v[75:76], v[57:58] offset1:25
	global_wb scope:SCOPE_SE
	s_wait_dscnt 0x0
	s_barrier_signal -1
	s_barrier_wait -1
	global_inv scope:SCOPE_SE
	ds_load_b64 v[23:24], v40
	v_sub_nc_u32_e32 v28, 0, v41
                                        ; implicit-def: $vgpr21
                                        ; implicit-def: $vgpr29
                                        ; implicit-def: $vgpr30
	s_and_saveexec_b32 s1, s0
	s_wait_alu 0xfffe
	s_xor_b32 s0, exec_lo, s1
	s_cbranch_execz .LBB0_15
; %bb.14:
	global_load_b64 v[25:26], v[25:26], off offset:25520
	ds_load_b64 v[21:22], v28 offset:25600
	s_wait_dscnt 0x0
	v_dual_sub_f32 v29, v23, v21 :: v_dual_add_f32 v30, v22, v24
	v_dual_sub_f32 v22, v24, v22 :: v_dual_add_f32 v21, v21, v23
	s_delay_alu instid0(VALU_DEP_2) | instskip(SKIP_1) | instid1(VALU_DEP_1)
	v_dual_mul_f32 v24, 0.5, v29 :: v_dual_mul_f32 v23, 0.5, v30
	s_wait_loadcnt 0x0
	v_mul_f32_e32 v30, v26, v24
	s_delay_alu instid0(VALU_DEP_1) | instskip(SKIP_2) | instid1(VALU_DEP_3)
	v_fma_f32 v29, 0.5, v21, v30
	v_mul_f32_e32 v22, 0.5, v22
	v_fma_f32 v21, v21, 0.5, -v30
	v_fmac_f32_e32 v29, v25, v23
	s_delay_alu instid0(VALU_DEP_3) | instskip(SKIP_1) | instid1(VALU_DEP_4)
	v_fma_f32 v31, v23, v26, v22
	v_fma_f32 v22, v23, v26, -v22
	v_fma_f32 v21, -v25, v23, v21
	s_delay_alu instid0(VALU_DEP_3) | instskip(NEXT) | instid1(VALU_DEP_3)
	v_fma_f32 v30, -v25, v24, v31
	v_fma_f32 v22, -v25, v24, v22
                                        ; implicit-def: $vgpr23_vgpr24
.LBB0_15:
	s_wait_alu 0xfffe
	s_or_saveexec_b32 s0, s0
	v_mul_i32_i24_e32 v20, 0xffffffb8, v20
	s_wait_alu 0xfffe
	s_xor_b32 exec_lo, exec_lo, s0
	s_cbranch_execz .LBB0_17
; %bb.16:
	s_wait_dscnt 0x0
	v_dual_mov_b32 v30, 0 :: v_dual_add_f32 v29, v23, v24
	v_sub_f32_e32 v21, v23, v24
	ds_load_b32 v22, v30 offset:12804
	s_wait_dscnt 0x0
	v_xor_b32_e32 v23, 0x80000000, v22
	v_mov_b32_e32 v22, 0
	ds_store_b32 v30, v23 offset:12804
.LBB0_17:
	s_or_b32 exec_lo, exec_lo, s0
	s_wait_dscnt 0x0
	s_clause 0x5
	global_load_b64 v[23:24], v[34:35], off offset:25520
	global_load_b64 v[14:15], v[14:15], off offset:25520
	;; [unrolled: 1-line block ×6, first 2 shown]
	ds_store_2addr_b32 v40, v29, v30 offset1:1
	ds_store_b64 v28, v[21:22] offset:25600
	global_load_b64 v[4:5], v[4:5], off offset:25520
	v_add_nc_u32_e32 v31, v46, v20
	ds_load_b64 v[20:21], v31
	ds_load_b64 v[25:26], v28 offset:24320
	global_load_b64 v[2:3], v[2:3], off offset:25520
	s_wait_dscnt 0x0
	v_dual_sub_f32 v22, v20, v25 :: v_dual_add_f32 v29, v21, v26
	v_dual_add_f32 v20, v20, v25 :: v_dual_sub_f32 v21, v21, v26
	s_delay_alu instid0(VALU_DEP_2) | instskip(NEXT) | instid1(VALU_DEP_2)
	v_mul_f32_e32 v26, 0.5, v29
	v_dual_mul_f32 v22, 0.5, v22 :: v_dual_mul_f32 v21, 0.5, v21
	s_wait_loadcnt 0x7
	s_delay_alu instid0(VALU_DEP_1) | instskip(NEXT) | instid1(VALU_DEP_2)
	v_mul_f32_e32 v25, v24, v22
	v_fma_f32 v29, v26, v24, v21
	v_fma_f32 v21, v26, v24, -v21
	s_delay_alu instid0(VALU_DEP_3) | instskip(SKIP_1) | instid1(VALU_DEP_4)
	v_fma_f32 v24, 0.5, v20, v25
	v_fma_f32 v20, v20, 0.5, -v25
	v_fma_f32 v25, -v23, v22, v29
	s_delay_alu instid0(VALU_DEP_4) | instskip(NEXT) | instid1(VALU_DEP_4)
	v_fma_f32 v21, -v23, v22, v21
	v_fmac_f32_e32 v24, v23, v26
	s_delay_alu instid0(VALU_DEP_4)
	v_fma_f32 v20, -v23, v26, v20
	ds_store_b32 v31, v25 offset:4
	ds_store_b32 v28, v21 offset:24324
	ds_store_b32 v31, v24
	ds_store_b32 v28, v20 offset:24320
	ds_load_b64 v[20:21], v47
	ds_load_b64 v[22:23], v28 offset:23040
	global_load_b64 v[0:1], v[0:1], off offset:25520
	s_wait_dscnt 0x0
	v_dual_add_f32 v25, v21, v23 :: v_dual_sub_f32 v24, v20, v22
	v_dual_sub_f32 v21, v21, v23 :: v_dual_add_f32 v20, v20, v22
	s_delay_alu instid0(VALU_DEP_2) | instskip(SKIP_1) | instid1(VALU_DEP_1)
	v_dual_mul_f32 v23, 0.5, v24 :: v_dual_mul_f32 v24, 0.5, v25
	s_wait_loadcnt 0x7
	v_dual_mul_f32 v21, 0.5, v21 :: v_dual_mul_f32 v22, v15, v23
	s_delay_alu instid0(VALU_DEP_1) | instskip(SKIP_1) | instid1(VALU_DEP_3)
	v_fma_f32 v25, v24, v15, v21
	v_fma_f32 v15, v24, v15, -v21
	v_fma_f32 v21, 0.5, v20, v22
	v_fma_f32 v20, v20, 0.5, -v22
	s_delay_alu instid0(VALU_DEP_4) | instskip(NEXT) | instid1(VALU_DEP_4)
	v_fma_f32 v22, -v14, v23, v25
	v_fma_f32 v15, -v14, v23, v15
	s_delay_alu instid0(VALU_DEP_4) | instskip(NEXT) | instid1(VALU_DEP_4)
	v_fmac_f32_e32 v21, v14, v24
	v_fma_f32 v14, -v14, v24, v20
	ds_store_2addr_b32 v47, v21, v22 offset1:1
	ds_store_b64 v28, v[14:15] offset:23040
	ds_load_b64 v[14:15], v39
	ds_load_b64 v[20:21], v28 offset:21760
	s_wait_dscnt 0x0
	v_dual_sub_f32 v22, v14, v20 :: v_dual_add_f32 v23, v15, v21
	v_dual_sub_f32 v15, v15, v21 :: v_dual_add_f32 v14, v14, v20
	s_delay_alu instid0(VALU_DEP_2) | instskip(SKIP_1) | instid1(VALU_DEP_1)
	v_dual_mul_f32 v21, 0.5, v22 :: v_dual_mul_f32 v22, 0.5, v23
	s_wait_loadcnt 0x6
	v_dual_mul_f32 v15, 0.5, v15 :: v_dual_mul_f32 v20, v13, v21
	s_delay_alu instid0(VALU_DEP_1) | instskip(SKIP_1) | instid1(VALU_DEP_3)
	v_fma_f32 v23, v22, v13, v15
	v_fma_f32 v13, v22, v13, -v15
	v_fma_f32 v15, 0.5, v14, v20
	v_fma_f32 v14, v14, 0.5, -v20
	s_delay_alu instid0(VALU_DEP_4) | instskip(NEXT) | instid1(VALU_DEP_4)
	v_fma_f32 v20, -v12, v21, v23
	v_fma_f32 v13, -v12, v21, v13
	s_delay_alu instid0(VALU_DEP_4) | instskip(NEXT) | instid1(VALU_DEP_4)
	v_fmac_f32_e32 v15, v12, v22
	v_fma_f32 v12, -v12, v22, v14
	ds_store_2addr_b32 v39, v15, v20 offset1:1
	ds_store_b64 v28, v[12:13] offset:21760
	ds_load_b64 v[12:13], v45
	ds_load_b64 v[14:15], v28 offset:20480
	s_wait_dscnt 0x0
	v_dual_sub_f32 v20, v12, v14 :: v_dual_add_f32 v21, v13, v15
	;; [unrolled: 22-line block ×3, first 2 shown]
	v_dual_add_f32 v8, v8, v12 :: v_dual_sub_f32 v9, v9, v13
	s_delay_alu instid0(VALU_DEP_2) | instskip(NEXT) | instid1(VALU_DEP_2)
	v_dual_mul_f32 v13, 0.5, v14 :: v_dual_mul_f32 v14, 0.5, v15
	v_mul_f32_e32 v9, 0.5, v9
	s_wait_loadcnt 0x4
	s_delay_alu instid0(VALU_DEP_2) | instskip(NEXT) | instid1(VALU_DEP_2)
	v_mul_f32_e32 v12, v11, v13
	v_fma_f32 v15, v14, v11, v9
	v_fma_f32 v9, v14, v11, -v9
	s_delay_alu instid0(VALU_DEP_3) | instskip(SKIP_1) | instid1(VALU_DEP_4)
	v_fma_f32 v11, 0.5, v8, v12
	v_fma_f32 v8, v8, 0.5, -v12
	v_fma_f32 v12, -v10, v13, v15
	s_delay_alu instid0(VALU_DEP_4) | instskip(NEXT) | instid1(VALU_DEP_4)
	v_fma_f32 v9, -v10, v13, v9
	v_fmac_f32_e32 v11, v10, v14
	s_delay_alu instid0(VALU_DEP_4)
	v_fma_f32 v8, -v10, v14, v8
	ds_store_2addr_b32 v38, v11, v12 offset1:1
	ds_store_b64 v28, v[8:9] offset:19200
	ds_load_b64 v[8:9], v44
	ds_load_b64 v[10:11], v28 offset:17920
	s_wait_dscnt 0x0
	v_dual_sub_f32 v12, v8, v10 :: v_dual_add_f32 v13, v9, v11
	v_dual_sub_f32 v9, v9, v11 :: v_dual_add_f32 v8, v8, v10
	s_delay_alu instid0(VALU_DEP_2) | instskip(SKIP_1) | instid1(VALU_DEP_1)
	v_dual_mul_f32 v11, 0.5, v12 :: v_dual_mul_f32 v12, 0.5, v13
	s_wait_loadcnt 0x3
	v_dual_mul_f32 v9, 0.5, v9 :: v_dual_mul_f32 v10, v7, v11
	s_delay_alu instid0(VALU_DEP_1) | instskip(SKIP_1) | instid1(VALU_DEP_3)
	v_fma_f32 v13, v12, v7, v9
	v_fma_f32 v7, v12, v7, -v9
	v_fma_f32 v9, 0.5, v8, v10
	v_fma_f32 v8, v8, 0.5, -v10
	s_delay_alu instid0(VALU_DEP_4) | instskip(NEXT) | instid1(VALU_DEP_4)
	v_fma_f32 v10, -v6, v11, v13
	v_fma_f32 v7, -v6, v11, v7
	s_delay_alu instid0(VALU_DEP_4) | instskip(NEXT) | instid1(VALU_DEP_4)
	v_fmac_f32_e32 v9, v6, v12
	v_fma_f32 v6, -v6, v12, v8
	ds_store_2addr_b32 v44, v9, v10 offset1:1
	ds_store_b64 v28, v[6:7] offset:17920
	ds_load_b64 v[6:7], v27
	ds_load_b64 v[8:9], v28 offset:16640
	s_wait_dscnt 0x0
	v_dual_sub_f32 v10, v6, v8 :: v_dual_add_f32 v11, v7, v9
	v_dual_sub_f32 v7, v7, v9 :: v_dual_add_f32 v6, v6, v8
	s_delay_alu instid0(VALU_DEP_2) | instskip(SKIP_1) | instid1(VALU_DEP_1)
	v_dual_mul_f32 v9, 0.5, v10 :: v_dual_mul_f32 v10, 0.5, v11
	s_wait_loadcnt 0x2
	v_dual_mul_f32 v7, 0.5, v7 :: v_dual_mul_f32 v8, v5, v9
	s_delay_alu instid0(VALU_DEP_1) | instskip(SKIP_1) | instid1(VALU_DEP_3)
	v_fma_f32 v11, v10, v5, v7
	v_fma_f32 v5, v10, v5, -v7
	v_fma_f32 v7, 0.5, v6, v8
	v_fma_f32 v6, v6, 0.5, -v8
	s_delay_alu instid0(VALU_DEP_4) | instskip(NEXT) | instid1(VALU_DEP_4)
	v_fma_f32 v8, -v4, v9, v11
	v_fma_f32 v5, -v4, v9, v5
	s_delay_alu instid0(VALU_DEP_4) | instskip(NEXT) | instid1(VALU_DEP_4)
	v_fmac_f32_e32 v7, v4, v10
	;; [unrolled: 22-line block ×4, first 2 shown]
	v_fma_f32 v0, -v0, v6, v2
	ds_store_2addr_b32 v17, v3, v4 offset1:1
	ds_store_b64 v28, v[0:1] offset:14080
	global_wb scope:SCOPE_SE
	s_wait_dscnt 0x0
	s_barrier_signal -1
	s_barrier_wait -1
	global_inv scope:SCOPE_SE
	s_and_saveexec_b32 s0, vcc_lo
	s_cbranch_execz .LBB0_20
; %bb.18:
	v_dual_mov_b32 v17, 0 :: v_dual_add_nc_u32 v6, 0x800, v40
	v_add_co_u32 v0, vcc_lo, s8, v18
	v_add_nc_u32_e32 v18, 0x1c00, v40
	v_add_nc_u32_e32 v38, 0x5000, v40
	;; [unrolled: 1-line block ×8, first 2 shown]
	ds_load_2addr_b64 v[2:5], v40 offset1:160
	s_wait_alu 0xfffd
	v_add_co_ci_u32_e32 v1, vcc_lo, s9, v19, vcc_lo
	ds_load_2addr_b64 v[6:9], v6 offset0:64 offset1:224
	ds_load_2addr_b64 v[10:13], v10 offset1:160
	ds_load_2addr_b64 v[18:21], v18 offset0:64 offset1:224
	ds_load_2addr_b64 v[22:25], v22 offset1:160
	;; [unrolled: 2-line block ×4, first 2 shown]
	ds_load_2addr_b64 v[42:45], v42 offset0:64 offset1:224
	v_lshlrev_b64_e32 v[14:15], 3, v[16:17]
	s_delay_alu instid0(VALU_DEP_1) | instskip(SKIP_1) | instid1(VALU_DEP_2)
	v_add_co_u32 v14, vcc_lo, v0, v14
	s_wait_alu 0xfffd
	v_add_co_ci_u32_e32 v15, vcc_lo, v1, v15, vcc_lo
	v_cmp_eq_u32_e32 vcc_lo, 0x9f, v16
	s_wait_dscnt 0x9
	s_clause 0x1
	global_store_b64 v[14:15], v[2:3], off
	global_store_b64 v[14:15], v[4:5], off offset:1280
	s_wait_dscnt 0x8
	s_clause 0x1
	global_store_b64 v[14:15], v[6:7], off offset:2560
	global_store_b64 v[14:15], v[8:9], off offset:3840
	s_wait_dscnt 0x7
	s_clause 0x1
	global_store_b64 v[14:15], v[10:11], off offset:5120
	;; [unrolled: 4-line block ×9, first 2 shown]
	global_store_b64 v[14:15], v[44:45], off offset:24320
	s_and_b32 exec_lo, exec_lo, vcc_lo
	s_cbranch_execz .LBB0_20
; %bb.19:
	ds_load_b64 v[2:3], v17 offset:25600
	s_wait_dscnt 0x0
	global_store_b64 v[0:1], v[2:3], off offset:25600
.LBB0_20:
	s_nop 0
	s_sendmsg sendmsg(MSG_DEALLOC_VGPRS)
	s_endpgm
	.section	.rodata,"a",@progbits
	.p2align	6, 0x0
	.amdhsa_kernel fft_rtc_fwd_len3200_factors_10_10_4_4_2_wgs_160_tpt_160_halfLds_sp_ip_CI_unitstride_sbrr_R2C_dirReg
		.amdhsa_group_segment_fixed_size 0
		.amdhsa_private_segment_fixed_size 0
		.amdhsa_kernarg_size 88
		.amdhsa_user_sgpr_count 2
		.amdhsa_user_sgpr_dispatch_ptr 0
		.amdhsa_user_sgpr_queue_ptr 0
		.amdhsa_user_sgpr_kernarg_segment_ptr 1
		.amdhsa_user_sgpr_dispatch_id 0
		.amdhsa_user_sgpr_private_segment_size 0
		.amdhsa_wavefront_size32 1
		.amdhsa_uses_dynamic_stack 0
		.amdhsa_enable_private_segment 0
		.amdhsa_system_sgpr_workgroup_id_x 1
		.amdhsa_system_sgpr_workgroup_id_y 0
		.amdhsa_system_sgpr_workgroup_id_z 0
		.amdhsa_system_sgpr_workgroup_info 0
		.amdhsa_system_vgpr_workitem_id 0
		.amdhsa_next_free_vgpr 115
		.amdhsa_next_free_sgpr 32
		.amdhsa_reserve_vcc 1
		.amdhsa_float_round_mode_32 0
		.amdhsa_float_round_mode_16_64 0
		.amdhsa_float_denorm_mode_32 3
		.amdhsa_float_denorm_mode_16_64 3
		.amdhsa_fp16_overflow 0
		.amdhsa_workgroup_processor_mode 1
		.amdhsa_memory_ordered 1
		.amdhsa_forward_progress 0
		.amdhsa_round_robin_scheduling 0
		.amdhsa_exception_fp_ieee_invalid_op 0
		.amdhsa_exception_fp_denorm_src 0
		.amdhsa_exception_fp_ieee_div_zero 0
		.amdhsa_exception_fp_ieee_overflow 0
		.amdhsa_exception_fp_ieee_underflow 0
		.amdhsa_exception_fp_ieee_inexact 0
		.amdhsa_exception_int_div_zero 0
	.end_amdhsa_kernel
	.text
.Lfunc_end0:
	.size	fft_rtc_fwd_len3200_factors_10_10_4_4_2_wgs_160_tpt_160_halfLds_sp_ip_CI_unitstride_sbrr_R2C_dirReg, .Lfunc_end0-fft_rtc_fwd_len3200_factors_10_10_4_4_2_wgs_160_tpt_160_halfLds_sp_ip_CI_unitstride_sbrr_R2C_dirReg
                                        ; -- End function
	.section	.AMDGPU.csdata,"",@progbits
; Kernel info:
; codeLenInByte = 13972
; NumSgprs: 34
; NumVgprs: 115
; ScratchSize: 0
; MemoryBound: 0
; FloatMode: 240
; IeeeMode: 1
; LDSByteSize: 0 bytes/workgroup (compile time only)
; SGPRBlocks: 4
; VGPRBlocks: 14
; NumSGPRsForWavesPerEU: 34
; NumVGPRsForWavesPerEU: 115
; Occupancy: 12
; WaveLimiterHint : 1
; COMPUTE_PGM_RSRC2:SCRATCH_EN: 0
; COMPUTE_PGM_RSRC2:USER_SGPR: 2
; COMPUTE_PGM_RSRC2:TRAP_HANDLER: 0
; COMPUTE_PGM_RSRC2:TGID_X_EN: 1
; COMPUTE_PGM_RSRC2:TGID_Y_EN: 0
; COMPUTE_PGM_RSRC2:TGID_Z_EN: 0
; COMPUTE_PGM_RSRC2:TIDIG_COMP_CNT: 0
	.text
	.p2alignl 7, 3214868480
	.fill 96, 4, 3214868480
	.type	__hip_cuid_7da5aad6fdb93ac0,@object ; @__hip_cuid_7da5aad6fdb93ac0
	.section	.bss,"aw",@nobits
	.globl	__hip_cuid_7da5aad6fdb93ac0
__hip_cuid_7da5aad6fdb93ac0:
	.byte	0                               ; 0x0
	.size	__hip_cuid_7da5aad6fdb93ac0, 1

	.ident	"AMD clang version 19.0.0git (https://github.com/RadeonOpenCompute/llvm-project roc-6.4.0 25133 c7fe45cf4b819c5991fe208aaa96edf142730f1d)"
	.section	".note.GNU-stack","",@progbits
	.addrsig
	.addrsig_sym __hip_cuid_7da5aad6fdb93ac0
	.amdgpu_metadata
---
amdhsa.kernels:
  - .args:
      - .actual_access:  read_only
        .address_space:  global
        .offset:         0
        .size:           8
        .value_kind:     global_buffer
      - .offset:         8
        .size:           8
        .value_kind:     by_value
      - .actual_access:  read_only
        .address_space:  global
        .offset:         16
        .size:           8
        .value_kind:     global_buffer
      - .actual_access:  read_only
        .address_space:  global
        .offset:         24
        .size:           8
        .value_kind:     global_buffer
      - .offset:         32
        .size:           8
        .value_kind:     by_value
      - .actual_access:  read_only
        .address_space:  global
        .offset:         40
        .size:           8
        .value_kind:     global_buffer
      - .actual_access:  read_only
        .address_space:  global
        .offset:         48
        .size:           8
        .value_kind:     global_buffer
      - .offset:         56
        .size:           4
        .value_kind:     by_value
      - .actual_access:  read_only
        .address_space:  global
        .offset:         64
        .size:           8
        .value_kind:     global_buffer
      - .actual_access:  read_only
        .address_space:  global
        .offset:         72
        .size:           8
        .value_kind:     global_buffer
      - .address_space:  global
        .offset:         80
        .size:           8
        .value_kind:     global_buffer
    .group_segment_fixed_size: 0
    .kernarg_segment_align: 8
    .kernarg_segment_size: 88
    .language:       OpenCL C
    .language_version:
      - 2
      - 0
    .max_flat_workgroup_size: 160
    .name:           fft_rtc_fwd_len3200_factors_10_10_4_4_2_wgs_160_tpt_160_halfLds_sp_ip_CI_unitstride_sbrr_R2C_dirReg
    .private_segment_fixed_size: 0
    .sgpr_count:     34
    .sgpr_spill_count: 0
    .symbol:         fft_rtc_fwd_len3200_factors_10_10_4_4_2_wgs_160_tpt_160_halfLds_sp_ip_CI_unitstride_sbrr_R2C_dirReg.kd
    .uniform_work_group_size: 1
    .uses_dynamic_stack: false
    .vgpr_count:     115
    .vgpr_spill_count: 0
    .wavefront_size: 32
    .workgroup_processor_mode: 1
amdhsa.target:   amdgcn-amd-amdhsa--gfx1201
amdhsa.version:
  - 1
  - 2
...

	.end_amdgpu_metadata
